;; amdgpu-corpus repo=ROCm/rocFFT kind=compiled arch=gfx906 opt=O3
	.text
	.amdgcn_target "amdgcn-amd-amdhsa--gfx906"
	.amdhsa_code_object_version 6
	.protected	fft_rtc_back_len1014_factors_13_6_13_wgs_156_tpt_78_dp_op_CI_CI_unitstride_sbrr_C2R_dirReg ; -- Begin function fft_rtc_back_len1014_factors_13_6_13_wgs_156_tpt_78_dp_op_CI_CI_unitstride_sbrr_C2R_dirReg
	.globl	fft_rtc_back_len1014_factors_13_6_13_wgs_156_tpt_78_dp_op_CI_CI_unitstride_sbrr_C2R_dirReg
	.p2align	8
	.type	fft_rtc_back_len1014_factors_13_6_13_wgs_156_tpt_78_dp_op_CI_CI_unitstride_sbrr_C2R_dirReg,@function
fft_rtc_back_len1014_factors_13_6_13_wgs_156_tpt_78_dp_op_CI_CI_unitstride_sbrr_C2R_dirReg: ; @fft_rtc_back_len1014_factors_13_6_13_wgs_156_tpt_78_dp_op_CI_CI_unitstride_sbrr_C2R_dirReg
; %bb.0:
	s_load_dwordx4 s[8:11], s[4:5], 0x58
	s_load_dwordx4 s[12:15], s[4:5], 0x0
	;; [unrolled: 1-line block ×3, first 2 shown]
	v_mul_u32_u24_e32 v1, 0x349, v0
	v_lshrrev_b32_e32 v7, 16, v1
	v_mov_b32_e32 v3, 0
	s_waitcnt lgkmcnt(0)
	v_cmp_lt_u64_e64 s[0:1], s[14:15], 2
	v_mov_b32_e32 v1, 0
	v_lshl_add_u32 v5, s6, 1, v7
	v_mov_b32_e32 v6, v3
	s_and_b64 vcc, exec, s[0:1]
	v_mov_b32_e32 v2, 0
	s_cbranch_vccnz .LBB0_8
; %bb.1:
	s_load_dwordx2 s[0:1], s[4:5], 0x10
	s_add_u32 s2, s18, 8
	s_addc_u32 s3, s19, 0
	s_add_u32 s6, s16, 8
	v_mov_b32_e32 v1, 0
	s_addc_u32 s7, s17, 0
	v_mov_b32_e32 v2, 0
	s_waitcnt lgkmcnt(0)
	s_add_u32 s20, s0, 8
	v_mov_b32_e32 v73, v2
	s_addc_u32 s21, s1, 0
	s_mov_b64 s[22:23], 1
	v_mov_b32_e32 v72, v1
.LBB0_2:                                ; =>This Inner Loop Header: Depth=1
	s_load_dwordx2 s[24:25], s[20:21], 0x0
                                        ; implicit-def: $vgpr76_vgpr77
	s_waitcnt lgkmcnt(0)
	v_or_b32_e32 v4, s25, v6
	v_cmp_ne_u64_e32 vcc, 0, v[3:4]
	s_and_saveexec_b64 s[0:1], vcc
	s_xor_b64 s[26:27], exec, s[0:1]
	s_cbranch_execz .LBB0_4
; %bb.3:                                ;   in Loop: Header=BB0_2 Depth=1
	v_cvt_f32_u32_e32 v4, s24
	v_cvt_f32_u32_e32 v8, s25
	s_sub_u32 s0, 0, s24
	s_subb_u32 s1, 0, s25
	v_mac_f32_e32 v4, 0x4f800000, v8
	v_rcp_f32_e32 v4, v4
	v_mul_f32_e32 v4, 0x5f7ffffc, v4
	v_mul_f32_e32 v8, 0x2f800000, v4
	v_trunc_f32_e32 v8, v8
	v_mac_f32_e32 v4, 0xcf800000, v8
	v_cvt_u32_f32_e32 v8, v8
	v_cvt_u32_f32_e32 v4, v4
	v_mul_lo_u32 v9, s0, v8
	v_mul_hi_u32 v10, s0, v4
	v_mul_lo_u32 v12, s1, v4
	v_mul_lo_u32 v11, s0, v4
	v_add_u32_e32 v9, v10, v9
	v_add_u32_e32 v9, v9, v12
	v_mul_hi_u32 v10, v4, v11
	v_mul_lo_u32 v12, v4, v9
	v_mul_hi_u32 v14, v4, v9
	v_mul_hi_u32 v13, v8, v11
	v_mul_lo_u32 v11, v8, v11
	v_mul_hi_u32 v15, v8, v9
	v_add_co_u32_e32 v10, vcc, v10, v12
	v_addc_co_u32_e32 v12, vcc, 0, v14, vcc
	v_mul_lo_u32 v9, v8, v9
	v_add_co_u32_e32 v10, vcc, v10, v11
	v_addc_co_u32_e32 v10, vcc, v12, v13, vcc
	v_addc_co_u32_e32 v11, vcc, 0, v15, vcc
	v_add_co_u32_e32 v9, vcc, v10, v9
	v_addc_co_u32_e32 v10, vcc, 0, v11, vcc
	v_add_co_u32_e32 v4, vcc, v4, v9
	v_addc_co_u32_e32 v8, vcc, v8, v10, vcc
	v_mul_lo_u32 v9, s0, v8
	v_mul_hi_u32 v10, s0, v4
	v_mul_lo_u32 v11, s1, v4
	v_mul_lo_u32 v12, s0, v4
	v_add_u32_e32 v9, v10, v9
	v_add_u32_e32 v9, v9, v11
	v_mul_lo_u32 v13, v4, v9
	v_mul_hi_u32 v14, v4, v12
	v_mul_hi_u32 v15, v4, v9
	;; [unrolled: 1-line block ×3, first 2 shown]
	v_mul_lo_u32 v12, v8, v12
	v_mul_hi_u32 v10, v8, v9
	v_add_co_u32_e32 v13, vcc, v14, v13
	v_addc_co_u32_e32 v14, vcc, 0, v15, vcc
	v_mul_lo_u32 v9, v8, v9
	v_add_co_u32_e32 v12, vcc, v13, v12
	v_addc_co_u32_e32 v11, vcc, v14, v11, vcc
	v_addc_co_u32_e32 v10, vcc, 0, v10, vcc
	v_add_co_u32_e32 v9, vcc, v11, v9
	v_addc_co_u32_e32 v10, vcc, 0, v10, vcc
	v_add_co_u32_e32 v4, vcc, v4, v9
	v_addc_co_u32_e32 v10, vcc, v8, v10, vcc
	v_mad_u64_u32 v[8:9], s[0:1], v5, v10, 0
	v_mul_hi_u32 v11, v5, v4
	v_add_co_u32_e32 v12, vcc, v11, v8
	v_addc_co_u32_e32 v13, vcc, 0, v9, vcc
	v_mad_u64_u32 v[8:9], s[0:1], v6, v4, 0
	v_mad_u64_u32 v[10:11], s[0:1], v6, v10, 0
	v_add_co_u32_e32 v4, vcc, v12, v8
	v_addc_co_u32_e32 v4, vcc, v13, v9, vcc
	v_addc_co_u32_e32 v8, vcc, 0, v11, vcc
	v_add_co_u32_e32 v4, vcc, v4, v10
	v_addc_co_u32_e32 v10, vcc, 0, v8, vcc
	v_mul_lo_u32 v11, s25, v4
	v_mul_lo_u32 v12, s24, v10
	v_mad_u64_u32 v[8:9], s[0:1], s24, v4, 0
	v_add3_u32 v9, v9, v12, v11
	v_sub_u32_e32 v11, v6, v9
	v_mov_b32_e32 v12, s25
	v_sub_co_u32_e32 v8, vcc, v5, v8
	v_subb_co_u32_e64 v11, s[0:1], v11, v12, vcc
	v_subrev_co_u32_e64 v12, s[0:1], s24, v8
	v_subbrev_co_u32_e64 v11, s[0:1], 0, v11, s[0:1]
	v_cmp_le_u32_e64 s[0:1], s25, v11
	v_cndmask_b32_e64 v13, 0, -1, s[0:1]
	v_cmp_le_u32_e64 s[0:1], s24, v12
	v_cndmask_b32_e64 v12, 0, -1, s[0:1]
	v_cmp_eq_u32_e64 s[0:1], s25, v11
	v_cndmask_b32_e64 v11, v13, v12, s[0:1]
	v_add_co_u32_e64 v12, s[0:1], 2, v4
	v_addc_co_u32_e64 v13, s[0:1], 0, v10, s[0:1]
	v_add_co_u32_e64 v14, s[0:1], 1, v4
	v_addc_co_u32_e64 v15, s[0:1], 0, v10, s[0:1]
	v_subb_co_u32_e32 v9, vcc, v6, v9, vcc
	v_cmp_ne_u32_e64 s[0:1], 0, v11
	v_cmp_le_u32_e32 vcc, s25, v9
	v_cndmask_b32_e64 v11, v15, v13, s[0:1]
	v_cndmask_b32_e64 v13, 0, -1, vcc
	v_cmp_le_u32_e32 vcc, s24, v8
	v_cndmask_b32_e64 v8, 0, -1, vcc
	v_cmp_eq_u32_e32 vcc, s25, v9
	v_cndmask_b32_e32 v8, v13, v8, vcc
	v_cmp_ne_u32_e32 vcc, 0, v8
	v_cndmask_b32_e64 v8, v14, v12, s[0:1]
	v_cndmask_b32_e32 v77, v10, v11, vcc
	v_cndmask_b32_e32 v76, v4, v8, vcc
.LBB0_4:                                ;   in Loop: Header=BB0_2 Depth=1
	s_andn2_saveexec_b64 s[0:1], s[26:27]
	s_cbranch_execz .LBB0_6
; %bb.5:                                ;   in Loop: Header=BB0_2 Depth=1
	v_cvt_f32_u32_e32 v4, s24
	s_sub_i32 s26, 0, s24
	v_mov_b32_e32 v77, v3
	v_rcp_iflag_f32_e32 v4, v4
	v_mul_f32_e32 v4, 0x4f7ffffe, v4
	v_cvt_u32_f32_e32 v4, v4
	v_mul_lo_u32 v8, s26, v4
	v_mul_hi_u32 v8, v4, v8
	v_add_u32_e32 v4, v4, v8
	v_mul_hi_u32 v4, v5, v4
	v_mul_lo_u32 v8, v4, s24
	v_add_u32_e32 v9, 1, v4
	v_sub_u32_e32 v8, v5, v8
	v_subrev_u32_e32 v10, s24, v8
	v_cmp_le_u32_e32 vcc, s24, v8
	v_cndmask_b32_e32 v8, v8, v10, vcc
	v_cndmask_b32_e32 v4, v4, v9, vcc
	v_add_u32_e32 v9, 1, v4
	v_cmp_le_u32_e32 vcc, s24, v8
	v_cndmask_b32_e32 v76, v4, v9, vcc
.LBB0_6:                                ;   in Loop: Header=BB0_2 Depth=1
	s_or_b64 exec, exec, s[0:1]
	v_mul_lo_u32 v4, v77, s24
	v_mul_lo_u32 v10, v76, s25
	v_mad_u64_u32 v[8:9], s[0:1], v76, s24, 0
	s_load_dwordx2 s[0:1], s[6:7], 0x0
	s_load_dwordx2 s[24:25], s[2:3], 0x0
	v_add3_u32 v4, v9, v10, v4
	v_sub_co_u32_e32 v5, vcc, v5, v8
	v_subb_co_u32_e32 v4, vcc, v6, v4, vcc
	s_waitcnt lgkmcnt(0)
	v_mul_lo_u32 v6, s0, v4
	v_mul_lo_u32 v8, s1, v5
	v_mad_u64_u32 v[1:2], s[0:1], s0, v5, v[1:2]
	v_mul_lo_u32 v4, s24, v4
	v_mul_lo_u32 v9, s25, v5
	v_mad_u64_u32 v[72:73], s[0:1], s24, v5, v[72:73]
	s_add_u32 s22, s22, 1
	s_addc_u32 s23, s23, 0
	s_add_u32 s2, s2, 8
	v_add3_u32 v73, v9, v73, v4
	s_addc_u32 s3, s3, 0
	v_mov_b32_e32 v4, s14
	s_add_u32 s6, s6, 8
	v_mov_b32_e32 v5, s15
	s_addc_u32 s7, s7, 0
	v_cmp_ge_u64_e32 vcc, s[22:23], v[4:5]
	s_add_u32 s20, s20, 8
	v_add3_u32 v2, v8, v2, v6
	s_addc_u32 s21, s21, 0
	s_cbranch_vccnz .LBB0_9
; %bb.7:                                ;   in Loop: Header=BB0_2 Depth=1
	v_mov_b32_e32 v5, v76
	v_mov_b32_e32 v6, v77
	s_branch .LBB0_2
.LBB0_8:
	v_mov_b32_e32 v73, v2
	v_mov_b32_e32 v77, v6
	;; [unrolled: 1-line block ×4, first 2 shown]
.LBB0_9:
	s_load_dwordx2 s[2:3], s[4:5], 0x28
	s_lshl_b64 s[6:7], s[14:15], 3
	s_add_u32 s14, s18, s6
	v_and_b32_e32 v3, 1, v7
	s_addc_u32 s15, s19, s7
	s_waitcnt lgkmcnt(0)
	v_cmp_gt_u64_e64 s[0:1], s[2:3], v[76:77]
	v_cmp_le_u64_e64 s[2:3], s[2:3], v[76:77]
	v_cmp_eq_u32_e32 vcc, 1, v3
	v_mov_b32_e32 v3, 0x3f7
                                        ; implicit-def: $vgpr74
	s_and_saveexec_b64 s[4:5], s[2:3]
	s_xor_b64 s[2:3], exec, s[4:5]
; %bb.10:
	s_mov_b32 s4, 0x3483484
	v_mul_hi_u32 v1, v0, s4
	v_mul_u32_u24_e32 v1, 0x4e, v1
	v_sub_u32_e32 v74, v0, v1
                                        ; implicit-def: $vgpr0
                                        ; implicit-def: $vgpr1_vgpr2
; %bb.11:
	s_or_saveexec_b64 s[4:5], s[2:3]
	s_load_dwordx2 s[2:3], s[14:15], 0x0
	v_cndmask_b32_e32 v3, 0, v3, vcc
	v_lshlrev_b32_e32 v80, 4, v3
	s_xor_b64 exec, exec, s[4:5]
	s_cbranch_execz .LBB0_15
; %bb.12:
	s_add_u32 s6, s16, s6
	s_addc_u32 s7, s17, s7
	s_load_dwordx2 s[6:7], s[6:7], 0x0
	s_mov_b32 s14, 0x3483484
	v_mul_hi_u32 v6, v0, s14
	v_lshlrev_b64 v[1:2], 4, v[1:2]
	s_waitcnt lgkmcnt(0)
	v_mul_lo_u32 v7, s7, v76
	v_mul_lo_u32 v8, s6, v77
	v_mad_u64_u32 v[4:5], s[6:7], s6, v76, 0
	v_mul_u32_u24_e32 v6, 0x4e, v6
	v_sub_u32_e32 v74, v0, v6
	v_add3_u32 v5, v5, v8, v7
	v_lshlrev_b64 v[4:5], 4, v[4:5]
	v_mov_b32_e32 v0, s9
	v_add_co_u32_e32 v4, vcc, s8, v4
	v_addc_co_u32_e32 v0, vcc, v0, v5, vcc
	v_add_co_u32_e32 v1, vcc, v4, v1
	v_addc_co_u32_e32 v0, vcc, v0, v2, vcc
	v_lshlrev_b32_e32 v2, 4, v74
	v_add_co_u32_e32 v44, vcc, v1, v2
	v_addc_co_u32_e32 v45, vcc, 0, v0, vcc
	s_movk_i32 s6, 0x1000
	v_add_co_u32_e32 v46, vcc, s6, v44
	v_addc_co_u32_e32 v47, vcc, 0, v45, vcc
	s_movk_i32 s6, 0x2000
	v_add_co_u32_e32 v48, vcc, s6, v44
	v_addc_co_u32_e32 v49, vcc, 0, v45, vcc
	v_add_co_u32_e32 v56, vcc, 0x3000, v44
	v_addc_co_u32_e32 v57, vcc, 0, v45, vcc
	global_load_dwordx4 v[4:7], v[44:45], off
	global_load_dwordx4 v[8:11], v[44:45], off offset:1248
	global_load_dwordx4 v[12:15], v[44:45], off offset:2496
	;; [unrolled: 1-line block ×9, first 2 shown]
	s_nop 0
	global_load_dwordx4 v[44:47], v[56:57], off offset:192
	global_load_dwordx4 v[48:51], v[56:57], off offset:1440
	;; [unrolled: 1-line block ×3, first 2 shown]
	s_movk_i32 s6, 0x4d
	v_add3_u32 v2, 0, v80, v2
	v_cmp_eq_u32_e32 vcc, s6, v74
	s_waitcnt vmcnt(12)
	ds_write_b128 v2, v[4:7]
	s_waitcnt vmcnt(11)
	ds_write_b128 v2, v[8:11] offset:1248
	s_waitcnt vmcnt(10)
	ds_write_b128 v2, v[12:15] offset:2496
	;; [unrolled: 2-line block ×12, first 2 shown]
	s_and_saveexec_b64 s[6:7], vcc
	s_cbranch_execz .LBB0_14
; %bb.13:
	v_add_co_u32_e32 v4, vcc, 0x3000, v1
	v_addc_co_u32_e32 v5, vcc, 0, v0, vcc
	global_load_dwordx4 v[4:7], v[4:5], off offset:3936
	v_mov_b32_e32 v74, 0x4d
	s_waitcnt vmcnt(0)
	ds_write_b128 v2, v[4:7] offset:14992
.LBB0_14:
	s_or_b64 exec, exec, s[6:7]
.LBB0_15:
	s_or_b64 exec, exec, s[4:5]
	v_lshl_add_u32 v78, v3, 4, 0
	v_lshlrev_b32_e32 v10, 4, v74
	v_add_u32_e32 v79, v78, v10
	s_waitcnt lgkmcnt(0)
	s_barrier
	v_sub_u32_e32 v11, v78, v10
	ds_read_b64 v[6:7], v79
	ds_read_b64 v[8:9], v11 offset:16224
	s_add_u32 s6, s12, 0x3e90
	s_addc_u32 s7, s13, 0
	v_cmp_ne_u32_e32 vcc, 0, v74
                                        ; implicit-def: $vgpr4_vgpr5
	s_waitcnt lgkmcnt(0)
	v_add_f64 v[0:1], v[6:7], v[8:9]
	v_add_f64 v[2:3], v[6:7], -v[8:9]
	s_and_saveexec_b64 s[4:5], vcc
	s_xor_b64 s[4:5], exec, s[4:5]
	s_cbranch_execz .LBB0_17
; %bb.16:
	v_mov_b32_e32 v75, 0
	v_lshlrev_b64 v[0:1], 4, v[74:75]
	v_mov_b32_e32 v2, s7
	v_add_co_u32_e32 v0, vcc, s6, v0
	v_addc_co_u32_e32 v1, vcc, v2, v1, vcc
	global_load_dwordx4 v[2:5], v[0:1], off
	ds_read_b64 v[0:1], v11 offset:16232
	ds_read_b64 v[12:13], v79 offset:8
	v_add_f64 v[14:15], v[6:7], v[8:9]
	v_add_f64 v[8:9], v[6:7], -v[8:9]
	s_waitcnt lgkmcnt(0)
	v_add_f64 v[16:17], v[0:1], v[12:13]
	v_add_f64 v[0:1], v[12:13], -v[0:1]
	s_waitcnt vmcnt(0)
	v_fma_f64 v[6:7], -v[8:9], v[4:5], v[14:15]
	v_fma_f64 v[12:13], v[16:17], v[4:5], -v[0:1]
	v_fma_f64 v[14:15], v[8:9], v[4:5], v[14:15]
	v_fma_f64 v[18:19], v[16:17], v[4:5], v[0:1]
	;; [unrolled: 1-line block ×4, first 2 shown]
	v_fma_f64 v[0:1], -v[16:17], v[2:3], v[14:15]
	v_fma_f64 v[2:3], v[8:9], v[2:3], v[18:19]
	ds_write_b128 v11, v[4:7] offset:16224
	v_mov_b32_e32 v4, v74
	v_mov_b32_e32 v5, v75
.LBB0_17:
	s_andn2_saveexec_b64 s[4:5], s[4:5]
	s_cbranch_execz .LBB0_19
; %bb.18:
	ds_read_b128 v[4:7], v78 offset:8112
	s_waitcnt lgkmcnt(0)
	v_add_f64 v[12:13], v[4:5], v[4:5]
	v_mul_f64 v[14:15], v[6:7], -2.0
	v_mov_b32_e32 v4, 0
	v_mov_b32_e32 v5, 0
	ds_write_b128 v78, v[12:15] offset:8112
.LBB0_19:
	s_or_b64 exec, exec, s[4:5]
	v_lshlrev_b64 v[4:5], 4, v[4:5]
	v_mov_b32_e32 v6, s7
	v_add_co_u32_e32 v24, vcc, s6, v4
	v_addc_co_u32_e32 v25, vcc, v6, v5, vcc
	global_load_dwordx4 v[4:7], v[24:25], off offset:1248
	global_load_dwordx4 v[12:15], v[24:25], off offset:2496
	ds_write_b128 v79, v[0:3]
	ds_read_b128 v[0:3], v79 offset:1248
	ds_read_b128 v[16:19], v11 offset:14976
	global_load_dwordx4 v[20:23], v[24:25], off offset:3744
	s_movk_i32 s4, 0x1000
	s_waitcnt lgkmcnt(0)
	v_add_f64 v[8:9], v[0:1], v[16:17]
	v_add_f64 v[26:27], v[18:19], v[2:3]
	v_add_f64 v[16:17], v[0:1], -v[16:17]
	v_add_f64 v[0:1], v[2:3], -v[18:19]
	s_waitcnt vmcnt(2)
	v_fma_f64 v[2:3], v[16:17], v[6:7], v[8:9]
	v_fma_f64 v[18:19], v[26:27], v[6:7], v[0:1]
	v_fma_f64 v[8:9], -v[16:17], v[6:7], v[8:9]
	v_fma_f64 v[28:29], v[26:27], v[6:7], -v[0:1]
	v_fma_f64 v[0:1], -v[26:27], v[4:5], v[2:3]
	v_fma_f64 v[2:3], v[16:17], v[4:5], v[18:19]
	v_fma_f64 v[6:7], v[26:27], v[4:5], v[8:9]
	;; [unrolled: 1-line block ×3, first 2 shown]
	ds_write_b128 v79, v[0:3] offset:1248
	ds_write_b128 v11, v[6:9] offset:14976
	v_add_co_u32_e32 v0, vcc, s4, v24
	v_addc_co_u32_e32 v1, vcc, 0, v25, vcc
	ds_read_b128 v[2:5], v79 offset:2496
	ds_read_b128 v[6:9], v11 offset:13728
	global_load_dwordx4 v[16:19], v[0:1], off offset:896
	v_cmp_gt_u32_e32 vcc, 39, v74
	s_waitcnt lgkmcnt(0)
	v_add_f64 v[24:25], v[2:3], v[6:7]
	v_add_f64 v[26:27], v[8:9], v[4:5]
	v_add_f64 v[28:29], v[2:3], -v[6:7]
	v_add_f64 v[2:3], v[4:5], -v[8:9]
	s_waitcnt vmcnt(2)
	v_fma_f64 v[4:5], v[28:29], v[14:15], v[24:25]
	v_fma_f64 v[6:7], v[26:27], v[14:15], v[2:3]
	v_fma_f64 v[8:9], -v[28:29], v[14:15], v[24:25]
	v_fma_f64 v[14:15], v[26:27], v[14:15], -v[2:3]
	v_fma_f64 v[2:3], -v[26:27], v[12:13], v[4:5]
	v_fma_f64 v[4:5], v[28:29], v[12:13], v[6:7]
	v_fma_f64 v[6:7], v[26:27], v[12:13], v[8:9]
	;; [unrolled: 1-line block ×3, first 2 shown]
	ds_write_b128 v79, v[2:5] offset:2496
	ds_write_b128 v11, v[6:9] offset:13728
	ds_read_b128 v[2:5], v79 offset:3744
	ds_read_b128 v[6:9], v11 offset:12480
	global_load_dwordx4 v[12:15], v[0:1], off offset:2144
	s_waitcnt lgkmcnt(0)
	v_add_f64 v[24:25], v[2:3], v[6:7]
	v_add_f64 v[26:27], v[8:9], v[4:5]
	v_add_f64 v[28:29], v[2:3], -v[6:7]
	v_add_f64 v[2:3], v[4:5], -v[8:9]
	s_waitcnt vmcnt(2)
	v_fma_f64 v[4:5], v[28:29], v[22:23], v[24:25]
	v_fma_f64 v[6:7], v[26:27], v[22:23], v[2:3]
	v_fma_f64 v[8:9], -v[28:29], v[22:23], v[24:25]
	v_fma_f64 v[22:23], v[26:27], v[22:23], -v[2:3]
	v_fma_f64 v[2:3], -v[26:27], v[20:21], v[4:5]
	v_fma_f64 v[4:5], v[28:29], v[20:21], v[6:7]
	v_fma_f64 v[6:7], v[26:27], v[20:21], v[8:9]
	;; [unrolled: 1-line block ×3, first 2 shown]
	ds_write_b128 v79, v[2:5] offset:3744
	ds_write_b128 v11, v[6:9] offset:12480
	ds_read_b128 v[2:5], v79 offset:4992
	ds_read_b128 v[6:9], v11 offset:11232
	s_waitcnt lgkmcnt(0)
	v_add_f64 v[20:21], v[2:3], v[6:7]
	v_add_f64 v[22:23], v[8:9], v[4:5]
	v_add_f64 v[24:25], v[2:3], -v[6:7]
	v_add_f64 v[2:3], v[4:5], -v[8:9]
	s_waitcnt vmcnt(1)
	v_fma_f64 v[4:5], v[24:25], v[18:19], v[20:21]
	v_fma_f64 v[6:7], v[22:23], v[18:19], v[2:3]
	v_fma_f64 v[8:9], -v[24:25], v[18:19], v[20:21]
	v_fma_f64 v[18:19], v[22:23], v[18:19], -v[2:3]
	v_fma_f64 v[2:3], -v[22:23], v[16:17], v[4:5]
	v_fma_f64 v[4:5], v[24:25], v[16:17], v[6:7]
	v_fma_f64 v[6:7], v[22:23], v[16:17], v[8:9]
	;; [unrolled: 1-line block ×3, first 2 shown]
	ds_write_b128 v79, v[2:5] offset:4992
	ds_write_b128 v11, v[6:9] offset:11232
	ds_read_b128 v[2:5], v79 offset:6240
	ds_read_b128 v[6:9], v11 offset:9984
	s_waitcnt lgkmcnt(0)
	v_add_f64 v[16:17], v[2:3], v[6:7]
	v_add_f64 v[18:19], v[8:9], v[4:5]
	v_add_f64 v[20:21], v[2:3], -v[6:7]
	v_add_f64 v[2:3], v[4:5], -v[8:9]
	s_waitcnt vmcnt(0)
	v_fma_f64 v[4:5], v[20:21], v[14:15], v[16:17]
	v_fma_f64 v[6:7], v[18:19], v[14:15], v[2:3]
	v_fma_f64 v[8:9], -v[20:21], v[14:15], v[16:17]
	v_fma_f64 v[14:15], v[18:19], v[14:15], -v[2:3]
	v_fma_f64 v[2:3], -v[18:19], v[12:13], v[4:5]
	v_fma_f64 v[4:5], v[20:21], v[12:13], v[6:7]
	v_fma_f64 v[6:7], v[18:19], v[12:13], v[8:9]
	;; [unrolled: 1-line block ×3, first 2 shown]
	ds_write_b128 v79, v[2:5] offset:6240
	ds_write_b128 v11, v[6:9] offset:9984
	s_and_saveexec_b64 s[4:5], vcc
	s_cbranch_execz .LBB0_21
; %bb.20:
	global_load_dwordx4 v[0:3], v[0:1], off offset:3392
	ds_read_b128 v[4:7], v79 offset:7488
	ds_read_b128 v[12:15], v11 offset:8736
	s_waitcnt lgkmcnt(0)
	v_add_f64 v[8:9], v[4:5], v[12:13]
	v_add_f64 v[16:17], v[14:15], v[6:7]
	v_add_f64 v[12:13], v[4:5], -v[12:13]
	v_add_f64 v[4:5], v[6:7], -v[14:15]
	s_waitcnt vmcnt(0)
	v_fma_f64 v[6:7], v[12:13], v[2:3], v[8:9]
	v_fma_f64 v[14:15], v[16:17], v[2:3], v[4:5]
	v_fma_f64 v[8:9], -v[12:13], v[2:3], v[8:9]
	v_fma_f64 v[18:19], v[16:17], v[2:3], -v[4:5]
	v_fma_f64 v[2:3], -v[16:17], v[0:1], v[6:7]
	v_fma_f64 v[4:5], v[12:13], v[0:1], v[14:15]
	v_fma_f64 v[6:7], v[16:17], v[0:1], v[8:9]
	;; [unrolled: 1-line block ×3, first 2 shown]
	ds_write_b128 v79, v[2:5] offset:7488
	ds_write_b128 v11, v[6:9] offset:8736
.LBB0_21:
	s_or_b64 exec, exec, s[4:5]
	s_waitcnt lgkmcnt(0)
	s_barrier
	s_barrier
	v_add3_u32 v75, 0, v10, v80
	ds_read_b128 v[0:3], v79
	ds_read_b128 v[4:7], v75 offset:1248
	ds_read_b128 v[8:11], v75 offset:2496
	;; [unrolled: 1-line block ×6, first 2 shown]
	s_waitcnt lgkmcnt(5)
	v_add_f64 v[16:17], v[0:1], v[4:5]
	v_add_f64 v[18:19], v[2:3], v[6:7]
	ds_read_b128 v[26:29], v75 offset:8736
	ds_read_b128 v[42:45], v75 offset:9984
	;; [unrolled: 1-line block ×6, first 2 shown]
	s_mov_b32 s18, 0x42a4c3d2
	s_waitcnt lgkmcnt(5)
	v_add_f64 v[20:21], v[24:25], v[28:29]
	s_mov_b32 s19, 0xbfea55e2
	s_mov_b32 s24, 0x4267c47c
	v_add_f64 v[16:17], v[16:17], v[8:9]
	v_add_f64 v[18:19], v[18:19], v[10:11]
	s_waitcnt lgkmcnt(0)
	v_add_f64 v[66:67], v[6:7], -v[60:61]
	v_add_f64 v[68:69], v[4:5], -v[58:59]
	s_mov_b32 s16, 0x1ea71119
	s_mov_b32 s4, 0x66966769
	;; [unrolled: 1-line block ×4, first 2 shown]
	v_add_f64 v[16:17], v[16:17], v[12:13]
	v_add_f64 v[18:19], v[18:19], v[14:15]
	s_mov_b32 s44, 0x4bc48dbf
	s_mov_b32 s25, 0xbfddbe06
	;; [unrolled: 1-line block ×6, first 2 shown]
	v_add_f64 v[16:17], v[16:17], v[38:39]
	v_add_f64 v[18:19], v[18:19], v[40:41]
	s_mov_b32 s45, 0xbfcea1e5
	v_mul_f64 v[70:71], v[66:67], s[4:5]
	s_mov_b32 s20, 0xe00740e9
	s_mov_b32 s6, 0xebaa3ed8
	s_mov_b32 s14, 0xb2365da1
	s_mov_b32 s30, 0xd0032e0c
	v_add_f64 v[16:17], v[16:17], v[30:31]
	v_add_f64 v[18:19], v[18:19], v[32:33]
	s_mov_b32 s40, 0x93053d00
	s_mov_b32 s21, 0x3fec55a7
	;; [unrolled: 1-line block ×6, first 2 shown]
	v_add_f64 v[34:35], v[16:17], v[22:23]
	v_add_f64 v[36:37], v[18:19], v[24:25]
	;; [unrolled: 1-line block ×3, first 2 shown]
	v_add_f64 v[16:17], v[22:23], -v[26:27]
	v_add_f64 v[22:23], v[24:25], -v[28:29]
	;; [unrolled: 1-line block ×3, first 2 shown]
	s_mov_b32 s37, 0x3fddbe06
	s_mov_b32 s36, s24
	v_add_f64 v[62:63], v[34:35], v[26:27]
	v_add_f64 v[36:37], v[36:37], v[28:29]
	;; [unrolled: 1-line block ×4, first 2 shown]
	v_add_f64 v[34:35], v[32:33], -v[44:45]
	v_add_f64 v[30:31], v[38:39], v[46:47]
	v_add_f64 v[32:33], v[38:39], -v[46:47]
	v_add_f64 v[38:39], v[12:13], v[50:51]
	v_add_f64 v[42:43], v[62:63], v[42:43]
	;; [unrolled: 1-line block ×5, first 2 shown]
	v_add_f64 v[40:41], v[40:41], -v[48:49]
	v_add_f64 v[12:13], v[12:13], -v[50:51]
	s_mov_b32 s35, 0x3fea55e2
	s_mov_b32 s34, s18
	v_add_f64 v[64:65], v[42:43], v[46:47]
	v_add_f64 v[62:63], v[62:63], v[48:49]
	v_add_f64 v[46:47], v[14:15], -v[52:53]
	v_add_f64 v[42:43], v[8:9], v[54:55]
	v_add_f64 v[14:15], v[8:9], -v[54:55]
	v_add_f64 v[8:9], v[4:5], v[58:59]
	v_add_f64 v[48:49], v[10:11], v[56:57]
	s_mov_b32 s27, 0x3fefc445
	v_add_f64 v[64:65], v[64:65], v[50:51]
	v_add_f64 v[52:53], v[62:63], v[52:53]
	;; [unrolled: 1-line block ×3, first 2 shown]
	v_mul_f64 v[6:7], v[66:67], s[18:19]
	v_add_f64 v[50:51], v[10:11], -v[56:57]
	v_mul_f64 v[10:11], v[66:67], s[24:25]
	v_fma_f64 v[83:84], v[8:9], s[6:7], v[70:71]
	s_mov_b32 s26, s4
	v_add_f64 v[4:5], v[64:65], v[54:55]
	v_add_f64 v[52:53], v[52:53], v[56:57]
	v_mul_f64 v[54:55], v[66:67], s[8:9]
	v_fma_f64 v[64:65], v[8:9], s[16:17], v[6:7]
	v_fma_f64 v[81:82], v[8:9], s[16:17], -v[6:7]
	v_fma_f64 v[56:57], v[8:9], s[20:21], v[10:11]
	v_fma_f64 v[10:11], v[8:9], s[20:21], -v[10:11]
	v_mul_f64 v[85:86], v[62:63], s[20:21]
	v_add_f64 v[4:5], v[4:5], v[58:59]
	v_add_f64 v[6:7], v[52:53], v[60:61]
	v_mul_f64 v[58:59], v[66:67], s[22:23]
	v_mul_f64 v[60:61], v[66:67], s[44:45]
	v_fma_f64 v[52:53], v[8:9], s[6:7], -v[70:71]
	v_fma_f64 v[66:67], v[8:9], s[14:15], v[54:55]
	v_fma_f64 v[54:55], v[8:9], s[14:15], -v[54:55]
	v_fma_f64 v[89:90], v[68:69], s[36:37], v[85:86]
	v_mul_f64 v[91:92], v[62:63], s[6:7]
	v_mul_f64 v[95:96], v[62:63], s[14:15]
	v_fma_f64 v[70:71], v[8:9], s[30:31], v[58:59]
	v_fma_f64 v[58:59], v[8:9], s[30:31], -v[58:59]
	v_fma_f64 v[87:88], v[8:9], s[40:41], v[60:61]
	v_fma_f64 v[8:9], v[8:9], s[40:41], -v[60:61]
	v_mul_f64 v[60:61], v[62:63], s[16:17]
	v_mul_f64 v[99:100], v[62:63], s[30:31]
	;; [unrolled: 1-line block ×3, first 2 shown]
	s_mov_b32 s29, 0x3fedeba7
	s_mov_b32 s28, s8
	;; [unrolled: 1-line block ×5, first 2 shown]
	v_fma_f64 v[93:94], v[68:69], s[34:35], v[60:61]
	s_mov_b32 s42, s44
	v_fma_f64 v[85:86], v[68:69], s[24:25], v[85:86]
	v_fma_f64 v[60:61], v[68:69], s[18:19], v[60:61]
	;; [unrolled: 1-line block ×10, first 2 shown]
	v_add_f64 v[68:69], v[2:3], v[89:90]
	v_add_f64 v[89:90], v[2:3], v[93:94]
	v_mul_f64 v[93:94], v[50:51], s[18:19]
	v_add_f64 v[107:108], v[0:1], v[52:53]
	v_mul_f64 v[52:53], v[48:49], s[16:17]
	v_add_f64 v[56:57], v[0:1], v[56:57]
	v_add_f64 v[109:110], v[0:1], v[54:55]
	v_mul_f64 v[111:112], v[46:47], s[4:5]
	v_add_f64 v[113:114], v[0:1], v[70:71]
	v_mul_f64 v[115:116], v[44:45], s[6:7]
	v_fma_f64 v[54:55], v[42:43], s[16:17], v[93:94]
	v_add_f64 v[117:118], v[0:1], v[58:59]
	v_fma_f64 v[70:71], v[14:15], s[34:35], v[52:53]
	v_mul_f64 v[58:59], v[40:41], s[8:9]
	v_mul_f64 v[119:120], v[36:37], s[14:15]
	v_add_f64 v[10:11], v[0:1], v[10:11]
	v_add_f64 v[64:65], v[0:1], v[64:65]
	;; [unrolled: 1-line block ×4, first 2 shown]
	v_fma_f64 v[56:57], v[38:39], s[6:7], v[111:112]
	v_add_f64 v[68:69], v[70:71], v[68:69]
	v_fma_f64 v[70:71], v[12:13], s[26:27], v[115:116]
	v_add_f64 v[83:84], v[0:1], v[83:84]
	v_add_f64 v[66:67], v[0:1], v[66:67]
	;; [unrolled: 1-line block ×4, first 2 shown]
	v_mul_f64 v[0:1], v[34:35], s[22:23]
	v_add_f64 v[54:55], v[56:57], v[54:55]
	v_fma_f64 v[56:57], v[30:31], s[14:15], v[58:59]
	v_fma_f64 v[8:9], v[42:43], s[16:17], -v[93:94]
	v_add_f64 v[68:69], v[70:71], v[68:69]
	v_fma_f64 v[70:71], v[32:33], s[28:29], v[119:120]
	v_mul_f64 v[93:94], v[28:29], s[30:31]
	v_add_f64 v[85:86], v[2:3], v[85:86]
	v_add_f64 v[60:61], v[2:3], v[60:61]
	;; [unrolled: 1-line block ×11, first 2 shown]
	v_fma_f64 v[52:53], v[14:15], s[18:19], v[52:53]
	v_fma_f64 v[54:55], v[26:27], s[30:31], v[0:1]
	v_add_f64 v[8:9], v[8:9], v[10:11]
	v_fma_f64 v[10:11], v[38:39], s[6:7], -v[111:112]
	v_add_f64 v[56:57], v[70:71], v[68:69]
	v_fma_f64 v[62:63], v[24:25], s[38:39], v[93:94]
	v_mul_f64 v[68:69], v[22:23], s[44:45]
	v_mul_f64 v[70:71], v[20:21], s[40:41]
	v_add_f64 v[52:53], v[52:53], v[85:86]
	v_fma_f64 v[85:86], v[12:13], s[4:5], v[115:116]
	v_add_f64 v[2:3], v[54:55], v[2:3]
	v_add_f64 v[8:9], v[10:11], v[8:9]
	v_fma_f64 v[10:11], v[30:31], s[14:15], -v[58:59]
	v_add_f64 v[54:55], v[62:63], v[56:57]
	v_fma_f64 v[56:57], v[18:19], s[40:41], v[68:69]
	v_mul_f64 v[58:59], v[50:51], s[8:9]
	v_fma_f64 v[62:63], v[16:17], s[42:43], v[70:71]
	v_add_f64 v[52:53], v[85:86], v[52:53]
	v_fma_f64 v[85:86], v[32:33], s[8:9], v[119:120]
	v_mul_f64 v[111:112], v[48:49], s[14:15]
	v_add_f64 v[115:116], v[10:11], v[8:9]
	v_fma_f64 v[0:1], v[26:27], s[30:31], -v[0:1]
	v_add_f64 v[8:9], v[56:57], v[2:3]
	v_fma_f64 v[2:3], v[42:43], s[14:15], v[58:59]
	v_mul_f64 v[56:57], v[46:47], s[44:45]
	v_add_f64 v[10:11], v[62:63], v[54:55]
	v_add_f64 v[52:53], v[85:86], v[52:53]
	v_fma_f64 v[54:55], v[14:15], s[28:29], v[111:112]
	v_mul_f64 v[62:63], v[44:45], s[40:41]
	v_fma_f64 v[85:86], v[24:25], s[22:23], v[93:94]
	v_mul_f64 v[93:94], v[40:41], s[38:39]
	v_add_f64 v[2:3], v[2:3], v[64:65]
	v_fma_f64 v[64:65], v[38:39], s[40:41], v[56:57]
	v_add_f64 v[0:1], v[0:1], v[115:116]
	v_fma_f64 v[68:69], v[18:19], s[40:41], -v[68:69]
	v_add_f64 v[54:55], v[54:55], v[89:90]
	v_fma_f64 v[89:90], v[12:13], s[42:43], v[62:63]
	v_mul_f64 v[115:116], v[36:37], s[30:31]
	v_add_f64 v[52:53], v[85:86], v[52:53]
	v_fma_f64 v[70:71], v[16:17], s[44:45], v[70:71]
	v_add_f64 v[64:65], v[64:65], v[2:3]
	v_fma_f64 v[85:86], v[30:31], s[30:31], v[93:94]
	v_fma_f64 v[58:59], v[42:43], s[14:15], -v[58:59]
	v_add_f64 v[0:1], v[68:69], v[0:1]
	v_add_f64 v[54:55], v[89:90], v[54:55]
	v_fma_f64 v[68:69], v[32:33], s[22:23], v[115:116]
	v_mul_f64 v[89:90], v[34:35], s[26:27]
	v_mul_f64 v[119:120], v[28:29], s[6:7]
	v_add_f64 v[2:3], v[70:71], v[52:53]
	v_add_f64 v[52:53], v[85:86], v[64:65]
	v_fma_f64 v[64:65], v[14:15], s[8:9], v[111:112]
	v_add_f64 v[58:59], v[58:59], v[81:82]
	v_fma_f64 v[56:57], v[38:39], s[40:41], -v[56:57]
	v_add_f64 v[54:55], v[68:69], v[54:55]
	v_fma_f64 v[68:69], v[26:27], s[6:7], v[89:90]
	v_fma_f64 v[70:71], v[24:25], s[4:5], v[119:120]
	v_mul_f64 v[81:82], v[22:23], s[36:37]
	v_mul_f64 v[85:86], v[20:21], s[20:21]
	v_add_f64 v[60:61], v[64:65], v[60:61]
	v_fma_f64 v[62:63], v[12:13], s[44:45], v[62:63]
	v_add_f64 v[56:57], v[56:57], v[58:59]
	v_fma_f64 v[58:59], v[30:31], s[30:31], -v[93:94]
	v_add_f64 v[52:53], v[68:69], v[52:53]
	v_add_f64 v[54:55], v[70:71], v[54:55]
	v_fma_f64 v[64:65], v[18:19], s[20:21], v[81:82]
	v_mul_f64 v[68:69], v[50:51], s[44:45]
	v_fma_f64 v[70:71], v[16:17], s[24:25], v[85:86]
	v_add_f64 v[60:61], v[62:63], v[60:61]
	v_fma_f64 v[62:63], v[32:33], s[38:39], v[115:116]
	v_add_f64 v[56:57], v[58:59], v[56:57]
	v_fma_f64 v[58:59], v[26:27], s[6:7], -v[89:90]
	v_mul_f64 v[89:90], v[48:49], s[40:41]
	v_add_f64 v[52:53], v[64:65], v[52:53]
	v_fma_f64 v[64:65], v[42:43], s[40:41], v[68:69]
	v_mul_f64 v[93:94], v[46:47], s[28:29]
	v_add_f64 v[54:55], v[70:71], v[54:55]
	v_add_f64 v[60:61], v[62:63], v[60:61]
	v_fma_f64 v[62:63], v[24:25], s[26:27], v[119:120]
	v_add_f64 v[56:57], v[58:59], v[56:57]
	v_fma_f64 v[58:59], v[14:15], s[42:43], v[89:90]
	v_mul_f64 v[70:71], v[44:45], s[14:15]
	v_add_f64 v[64:65], v[64:65], v[83:84]
	v_fma_f64 v[83:84], v[38:39], s[14:15], v[93:94]
	v_mul_f64 v[111:112], v[40:41], s[36:37]
	v_fma_f64 v[81:82], v[18:19], s[20:21], -v[81:82]
	v_add_f64 v[60:61], v[62:63], v[60:61]
	v_fma_f64 v[62:63], v[16:17], s[36:37], v[85:86]
	v_add_f64 v[85:86], v[58:59], v[97:98]
	v_fma_f64 v[97:98], v[12:13], s[8:9], v[70:71]
	v_mul_f64 v[115:116], v[36:37], s[20:21]
	v_add_f64 v[64:65], v[83:84], v[64:65]
	v_fma_f64 v[83:84], v[30:31], s[20:21], v[111:112]
	v_add_f64 v[56:57], v[81:82], v[56:57]
	v_mul_f64 v[81:82], v[34:35], s[18:19]
	v_add_f64 v[58:59], v[62:63], v[60:61]
	v_fma_f64 v[60:61], v[42:43], s[40:41], -v[68:69]
	v_add_f64 v[62:63], v[97:98], v[85:86]
	v_fma_f64 v[68:69], v[32:33], s[24:25], v[115:116]
	v_mul_f64 v[85:86], v[28:29], s[16:17]
	v_add_f64 v[64:65], v[83:84], v[64:65]
	v_fma_f64 v[83:84], v[14:15], s[44:45], v[89:90]
	v_fma_f64 v[89:90], v[26:27], s[16:17], v[81:82]
	v_mul_f64 v[97:98], v[22:23], s[22:23]
	v_add_f64 v[60:61], v[60:61], v[107:108]
	v_fma_f64 v[93:94], v[38:39], s[14:15], -v[93:94]
	v_add_f64 v[62:63], v[68:69], v[62:63]
	v_fma_f64 v[68:69], v[24:25], s[34:35], v[85:86]
	v_mul_f64 v[107:108], v[20:21], s[30:31]
	v_add_f64 v[83:84], v[83:84], v[91:92]
	v_fma_f64 v[70:71], v[12:13], s[28:29], v[70:71]
	v_add_f64 v[64:65], v[89:90], v[64:65]
	v_fma_f64 v[89:90], v[18:19], s[30:31], v[97:98]
	v_add_f64 v[91:92], v[93:94], v[60:61]
	v_fma_f64 v[93:94], v[30:31], s[20:21], -v[111:112]
	v_add_f64 v[62:63], v[68:69], v[62:63]
	v_mul_f64 v[68:69], v[50:51], s[38:39]
	v_fma_f64 v[111:112], v[16:17], s[38:39], v[107:108]
	v_add_f64 v[70:71], v[70:71], v[83:84]
	v_fma_f64 v[83:84], v[32:33], s[36:37], v[115:116]
	v_add_f64 v[60:61], v[89:90], v[64:65]
	v_mul_f64 v[89:90], v[48:49], s[30:31]
	v_add_f64 v[64:65], v[93:94], v[91:92]
	v_fma_f64 v[81:82], v[26:27], s[16:17], -v[81:82]
	v_fma_f64 v[91:92], v[42:43], s[30:31], v[68:69]
	v_mul_f64 v[93:94], v[46:47], s[36:37]
	v_add_f64 v[62:63], v[111:112], v[62:63]
	v_add_f64 v[70:71], v[83:84], v[70:71]
	v_fma_f64 v[83:84], v[24:25], s[18:19], v[85:86]
	v_fma_f64 v[85:86], v[14:15], s[22:23], v[89:90]
	v_mul_f64 v[111:112], v[44:45], s[20:21]
	v_add_f64 v[64:65], v[81:82], v[64:65]
	v_add_f64 v[66:67], v[91:92], v[66:67]
	v_fma_f64 v[81:82], v[38:39], s[20:21], v[93:94]
	v_mul_f64 v[91:92], v[40:41], s[4:5]
	v_fma_f64 v[97:98], v[18:19], s[30:31], -v[97:98]
	v_add_f64 v[70:71], v[83:84], v[70:71]
	v_add_f64 v[83:84], v[85:86], v[101:102]
	v_fma_f64 v[85:86], v[12:13], s[24:25], v[111:112]
	v_mul_f64 v[101:102], v[36:37], s[6:7]
	v_fma_f64 v[107:108], v[16:17], s[22:23], v[107:108]
	v_add_f64 v[81:82], v[81:82], v[66:67]
	v_fma_f64 v[115:116], v[30:31], s[6:7], v[91:92]
	v_add_f64 v[64:65], v[97:98], v[64:65]
	v_mul_f64 v[97:98], v[34:35], s[42:43]
	v_fma_f64 v[68:69], v[42:43], s[30:31], -v[68:69]
	v_add_f64 v[83:84], v[85:86], v[83:84]
	v_fma_f64 v[85:86], v[32:33], s[26:27], v[101:102]
	v_mul_f64 v[119:120], v[28:29], s[40:41]
	v_add_f64 v[66:67], v[107:108], v[70:71]
	v_add_f64 v[70:71], v[115:116], v[81:82]
	v_fma_f64 v[81:82], v[14:15], s[38:39], v[89:90]
	v_fma_f64 v[89:90], v[26:27], s[40:41], v[97:98]
	v_add_f64 v[68:69], v[68:69], v[109:110]
	v_fma_f64 v[93:94], v[38:39], s[20:21], -v[93:94]
	v_add_f64 v[83:84], v[85:86], v[83:84]
	v_fma_f64 v[85:86], v[24:25], s[44:45], v[119:120]
	v_mul_f64 v[107:108], v[22:23], s[34:35]
	v_mul_f64 v[109:110], v[20:21], s[16:17]
	v_add_f64 v[81:82], v[81:82], v[95:96]
	v_fma_f64 v[95:96], v[12:13], s[36:37], v[111:112]
	v_add_f64 v[70:71], v[89:90], v[70:71]
	v_add_f64 v[68:69], v[93:94], v[68:69]
	v_fma_f64 v[89:90], v[30:31], s[6:7], -v[91:92]
	v_add_f64 v[83:84], v[85:86], v[83:84]
	v_fma_f64 v[85:86], v[18:19], s[16:17], v[107:108]
	v_fma_f64 v[91:92], v[16:17], s[18:19], v[109:110]
	v_mul_f64 v[93:94], v[50:51], s[26:27]
	v_add_f64 v[81:82], v[95:96], v[81:82]
	v_fma_f64 v[95:96], v[32:33], s[4:5], v[101:102]
	v_mul_f64 v[101:102], v[48:49], s[6:7]
	v_add_f64 v[89:90], v[89:90], v[68:69]
	v_fma_f64 v[97:98], v[26:27], s[40:41], -v[97:98]
	v_add_f64 v[68:69], v[85:86], v[70:71]
	v_add_f64 v[70:71], v[91:92], v[83:84]
	v_fma_f64 v[83:84], v[42:43], s[6:7], v[93:94]
	v_mul_f64 v[85:86], v[46:47], s[18:19]
	v_add_f64 v[81:82], v[95:96], v[81:82]
	v_fma_f64 v[91:92], v[14:15], s[4:5], v[101:102]
	v_mul_f64 v[95:96], v[44:45], s[16:17]
	v_add_f64 v[89:90], v[97:98], v[89:90]
	v_fma_f64 v[97:98], v[24:25], s[42:43], v[119:120]
	v_fma_f64 v[107:108], v[18:19], s[16:17], -v[107:108]
	v_add_f64 v[83:84], v[83:84], v[113:114]
	v_fma_f64 v[111:112], v[38:39], s[16:17], v[85:86]
	v_mul_f64 v[115:116], v[36:37], s[40:41]
	v_add_f64 v[91:92], v[91:92], v[103:104]
	v_fma_f64 v[103:104], v[12:13], s[34:35], v[95:96]
	v_fma_f64 v[109:110], v[16:17], s[34:35], v[109:110]
	v_add_f64 v[97:98], v[97:98], v[81:82]
	v_add_f64 v[81:82], v[107:108], v[89:90]
	v_fma_f64 v[101:102], v[14:15], s[26:27], v[101:102]
	v_add_f64 v[89:90], v[111:112], v[83:84]
	v_mul_f64 v[50:51], v[50:51], s[36:37]
	v_fma_f64 v[95:96], v[12:13], s[18:19], v[95:96]
	v_add_f64 v[91:92], v[103:104], v[91:92]
	v_fma_f64 v[103:104], v[32:33], s[44:45], v[115:116]
	v_add_f64 v[83:84], v[109:110], v[97:98]
	v_mul_f64 v[97:98], v[28:29], s[20:21]
	v_add_f64 v[99:100], v[101:102], v[99:100]
	v_mul_f64 v[48:49], v[48:49], s[20:21]
	v_fma_f64 v[101:102], v[42:43], s[20:21], v[50:51]
	v_mul_f64 v[46:47], v[46:47], s[22:23]
	v_mul_f64 v[113:114], v[40:41], s[42:43]
	v_add_f64 v[91:92], v[103:104], v[91:92]
	v_fma_f64 v[93:94], v[42:43], s[6:7], -v[93:94]
	v_fma_f64 v[103:104], v[24:25], s[24:25], v[97:98]
	v_add_f64 v[95:96], v[95:96], v[99:100]
	v_fma_f64 v[99:100], v[32:33], s[42:43], v[115:116]
	v_add_f64 v[87:88], v[101:102], v[87:88]
	v_fma_f64 v[101:102], v[14:15], s[24:25], v[48:49]
	v_mul_f64 v[44:45], v[44:45], s[30:31]
	v_mul_f64 v[40:41], v[40:41], s[34:35]
	v_fma_f64 v[42:43], v[42:43], s[20:21], -v[50:51]
	v_add_f64 v[91:92], v[103:104], v[91:92]
	v_fma_f64 v[103:104], v[38:39], s[30:31], v[46:47]
	v_fma_f64 v[14:15], v[14:15], s[36:37], v[48:49]
	v_mul_f64 v[111:112], v[34:35], s[36:37]
	v_add_f64 v[93:94], v[93:94], v[117:118]
	v_fma_f64 v[85:86], v[38:39], s[16:17], -v[85:86]
	v_add_f64 v[50:51], v[99:100], v[95:96]
	v_add_f64 v[95:96], v[101:102], v[105:106]
	v_fma_f64 v[99:100], v[12:13], s[38:39], v[44:45]
	v_add_f64 v[87:88], v[103:104], v[87:88]
	v_fma_f64 v[48:49], v[30:31], s[16:17], v[40:41]
	v_add_f64 v[42:43], v[42:43], v[121:122]
	v_mul_f64 v[36:37], v[36:37], s[16:17]
	v_fma_f64 v[38:39], v[38:39], s[30:31], -v[46:47]
	v_mul_f64 v[34:35], v[34:35], s[8:9]
	v_add_f64 v[14:15], v[14:15], v[123:124]
	v_fma_f64 v[12:13], v[12:13], s[22:23], v[44:45]
	v_fma_f64 v[107:108], v[30:31], s[40:41], v[113:114]
	v_add_f64 v[85:86], v[85:86], v[93:94]
	v_fma_f64 v[93:94], v[30:31], s[40:41], -v[113:114]
	v_add_f64 v[95:96], v[99:100], v[95:96]
	v_add_f64 v[44:45], v[48:49], v[87:88]
	v_fma_f64 v[48:49], v[32:33], s[18:19], v[36:37]
	v_add_f64 v[38:39], v[38:39], v[42:43]
	v_fma_f64 v[42:43], v[26:27], s[14:15], v[34:35]
	v_mul_f64 v[28:29], v[28:29], s[14:15]
	v_fma_f64 v[30:31], v[30:31], s[16:17], -v[40:41]
	v_add_f64 v[12:13], v[12:13], v[14:15]
	v_fma_f64 v[14:15], v[32:33], s[34:35], v[36:37]
	v_add_f64 v[89:90], v[107:108], v[89:90]
	v_fma_f64 v[107:108], v[26:27], s[20:21], v[111:112]
	v_add_f64 v[85:86], v[93:94], v[85:86]
	v_fma_f64 v[93:94], v[26:27], s[20:21], -v[111:112]
	v_add_f64 v[36:37], v[48:49], v[95:96]
	v_add_f64 v[42:43], v[42:43], v[44:45]
	v_fma_f64 v[44:45], v[24:25], s[28:29], v[28:29]
	v_add_f64 v[30:31], v[30:31], v[38:39]
	v_fma_f64 v[26:27], v[26:27], s[14:15], -v[34:35]
	v_mul_f64 v[34:35], v[22:23], s[8:9]
	v_add_f64 v[12:13], v[14:15], v[12:13]
	v_mul_f64 v[14:15], v[20:21], s[14:15]
	v_fma_f64 v[46:47], v[24:25], s[36:37], v[97:98]
	v_mul_f64 v[22:23], v[22:23], s[26:27]
	v_mul_f64 v[20:21], v[20:21], s[6:7]
	v_fma_f64 v[24:25], v[24:25], s[8:9], v[28:29]
	v_add_f64 v[89:90], v[107:108], v[89:90]
	v_add_f64 v[28:29], v[44:45], v[36:37]
	;; [unrolled: 1-line block ×3, first 2 shown]
	v_fma_f64 v[30:31], v[18:19], s[14:15], v[34:35]
	v_fma_f64 v[36:37], v[16:17], s[28:29], v[14:15]
	v_add_f64 v[32:33], v[46:47], v[50:51]
	v_fma_f64 v[44:45], v[18:19], s[6:7], v[22:23]
	v_fma_f64 v[46:47], v[16:17], s[4:5], v[20:21]
	v_add_f64 v[38:39], v[24:25], v[12:13]
	v_fma_f64 v[24:25], v[16:17], s[8:9], v[14:15]
	v_fma_f64 v[48:49], v[18:19], s[6:7], -v[22:23]
	v_fma_f64 v[50:51], v[16:17], s[26:27], v[20:21]
	v_add_f64 v[40:41], v[93:94], v[85:86]
	v_fma_f64 v[34:35], v[18:19], s[14:15], -v[34:35]
	v_add_f64 v[12:13], v[30:31], v[89:90]
	v_add_f64 v[14:15], v[36:37], v[91:92]
	;; [unrolled: 1-line block ×4, first 2 shown]
	s_movk_i32 s4, 0xc0
	v_add_f64 v[18:19], v[24:25], v[32:33]
	v_add_f64 v[24:25], v[48:49], v[26:27]
	;; [unrolled: 1-line block ×3, first 2 shown]
	v_mad_u32_u24 v28, v74, s4, v75
	v_add_f64 v[16:17], v[34:35], v[40:41]
	s_barrier
	ds_write_b128 v28, v[4:7]
	ds_write_b128 v28, v[8:11] offset:16
	ds_write_b128 v28, v[52:55] offset:32
	;; [unrolled: 1-line block ×12, first 2 shown]
	s_waitcnt lgkmcnt(0)
	s_barrier
	ds_read_b128 v[28:31], v79
	ds_read_b128 v[24:27], v75 offset:1248
	ds_read_b128 v[60:63], v75 offset:2704
	;; [unrolled: 1-line block ×11, first 2 shown]
	v_cmp_gt_u32_e32 vcc, 13, v74
                                        ; implicit-def: $vgpr22_vgpr23
                                        ; implicit-def: $vgpr18_vgpr19
                                        ; implicit-def: $vgpr14_vgpr15
                                        ; implicit-def: $vgpr10_vgpr11
                                        ; implicit-def: $vgpr6_vgpr7
	s_and_saveexec_b64 s[4:5], vcc
	s_cbranch_execz .LBB0_23
; %bb.22:
	ds_read_b128 v[0:3], v75 offset:2496
	ds_read_b128 v[4:7], v75 offset:5200
	ds_read_b128 v[8:11], v75 offset:7904
	ds_read_b128 v[12:15], v75 offset:10608
	ds_read_b128 v[16:19], v75 offset:13312
	ds_read_b128 v[20:23], v75 offset:16016
.LBB0_23:
	s_or_b64 exec, exec, s[4:5]
	s_movk_i32 s14, 0x4f
	v_mul_lo_u16_sdwa v81, v74, s14 dst_sel:DWORD dst_unused:UNUSED_PAD src0_sel:BYTE_0 src1_sel:DWORD
	v_lshrrev_b16_e32 v82, 10, v81
	v_mul_lo_u16_e32 v81, 13, v82
	v_sub_u16_e32 v83, v74, v81
	v_mov_b32_e32 v81, 5
	v_mul_u32_u24_sdwa v84, v83, v81 dst_sel:DWORD dst_unused:UNUSED_PAD src0_sel:BYTE_0 src1_sel:DWORD
	v_lshlrev_b32_e32 v102, 4, v84
	global_load_dwordx4 v[84:87], v102, s[12:13] offset:48
	global_load_dwordx4 v[88:91], v102, s[12:13] offset:32
	;; [unrolled: 1-line block ×3, first 2 shown]
	global_load_dwordx4 v[96:99], v102, s[12:13]
	s_mov_b32 s4, 0xe8584caa
	s_mov_b32 s5, 0xbfebb67a
	;; [unrolled: 1-line block ×4, first 2 shown]
	s_movk_i32 s8, 0x4e0
	s_waitcnt vmcnt(0) lgkmcnt(9)
	v_mul_f64 v[100:101], v[62:63], v[98:99]
	v_fma_f64 v[100:101], v[60:61], v[96:97], v[100:101]
	v_mul_f64 v[60:61], v[60:61], v[98:99]
	v_fma_f64 v[96:97], v[62:63], v[96:97], -v[60:61]
	s_waitcnt lgkmcnt(7)
	v_mul_f64 v[60:61], v[70:71], v[94:95]
	v_fma_f64 v[98:99], v[68:69], v[92:93], v[60:61]
	v_mul_f64 v[60:61], v[68:69], v[94:95]
	v_fma_f64 v[70:71], v[70:71], v[92:93], -v[60:61]
	s_waitcnt lgkmcnt(5)
	;; [unrolled: 5-line block ×3, first 2 shown]
	v_mul_f64 v[60:61], v[58:59], v[86:87]
	v_fma_f64 v[90:91], v[56:57], v[84:85], v[60:61]
	v_mul_f64 v[56:57], v[56:57], v[86:87]
	v_fma_f64 v[84:85], v[58:59], v[84:85], -v[56:57]
	global_load_dwordx4 v[56:59], v102, s[12:13] offset:64
	s_waitcnt vmcnt(0) lgkmcnt(1)
	v_mul_f64 v[60:61], v[54:55], v[58:59]
	v_fma_f64 v[86:87], v[52:53], v[56:57], v[60:61]
	v_mul_f64 v[52:53], v[52:53], v[58:59]
	v_fma_f64 v[94:95], v[54:55], v[56:57], -v[52:53]
	v_add_u16_e32 v53, 0x4e, v74
	v_mul_lo_u16_sdwa v52, v53, s14 dst_sel:DWORD dst_unused:UNUSED_PAD src0_sel:BYTE_0 src1_sel:DWORD
	v_lshrrev_b16_e32 v52, 10, v52
	v_mul_lo_u16_e32 v54, 13, v52
	v_sub_u16_e32 v53, v53, v54
	v_mul_u32_u24_sdwa v54, v53, v81 dst_sel:DWORD dst_unused:UNUSED_PAD src0_sel:BYTE_0 src1_sel:DWORD
	v_lshlrev_b32_e32 v104, 4, v54
	global_load_dwordx4 v[54:57], v104, s[12:13] offset:48
	global_load_dwordx4 v[58:61], v104, s[12:13] offset:32
	;; [unrolled: 1-line block ×3, first 2 shown]
	global_load_dwordx4 v[66:69], v104, s[12:13]
	s_waitcnt vmcnt(0)
	v_mul_f64 v[102:103], v[42:43], v[68:69]
	v_fma_f64 v[102:103], v[40:41], v[66:67], v[102:103]
	v_mul_f64 v[40:41], v[40:41], v[68:69]
	v_fma_f64 v[66:67], v[42:43], v[66:67], -v[40:41]
	v_mul_f64 v[40:41], v[50:51], v[64:65]
	v_fma_f64 v[68:69], v[48:49], v[62:63], v[40:41]
	v_mul_f64 v[40:41], v[48:49], v[64:65]
	v_fma_f64 v[62:63], v[50:51], v[62:63], -v[40:41]
	;; [unrolled: 4-line block ×4, first 2 shown]
	global_load_dwordx4 v[36:39], v104, s[12:13] offset:64
	s_waitcnt vmcnt(0) lgkmcnt(0)
	s_barrier
	v_mul_f64 v[40:41], v[34:35], v[38:39]
	v_fma_f64 v[56:57], v[32:33], v[36:37], v[40:41]
	v_mul_f64 v[32:33], v[32:33], v[38:39]
	v_fma_f64 v[104:105], v[34:35], v[36:37], -v[32:33]
	v_add_f64 v[32:33], v[28:29], v[98:99]
	v_add_f64 v[40:41], v[32:33], v[90:91]
	v_add_f64 v[32:33], v[98:99], v[90:91]
	v_fma_f64 v[28:29], v[32:33], -0.5, v[28:29]
	v_add_f64 v[32:33], v[70:71], -v[84:85]
	v_fma_f64 v[42:43], v[32:33], s[4:5], v[28:29]
	v_fma_f64 v[46:47], v[32:33], s[6:7], v[28:29]
	v_add_f64 v[28:29], v[30:31], v[70:71]
	v_add_f64 v[50:51], v[28:29], v[84:85]
	;; [unrolled: 1-line block ×3, first 2 shown]
	v_fma_f64 v[28:29], v[28:29], -0.5, v[30:31]
	v_add_f64 v[30:31], v[98:99], -v[90:91]
	v_fma_f64 v[70:71], v[30:31], s[6:7], v[28:29]
	v_fma_f64 v[84:85], v[30:31], s[4:5], v[28:29]
	v_add_f64 v[28:29], v[100:101], v[92:93]
	v_add_f64 v[30:31], v[88:89], -v[94:95]
	v_add_f64 v[44:45], v[28:29], v[86:87]
	v_add_f64 v[28:29], v[92:93], v[86:87]
	v_fma_f64 v[28:29], v[28:29], -0.5, v[100:101]
	v_fma_f64 v[34:35], v[30:31], s[4:5], v[28:29]
	v_fma_f64 v[38:39], v[30:31], s[6:7], v[28:29]
	v_add_f64 v[28:29], v[96:97], v[88:89]
	v_add_f64 v[30:31], v[92:93], -v[86:87]
	v_add_f64 v[90:91], v[28:29], v[94:95]
	v_add_f64 v[28:29], v[88:89], v[94:95]
	v_fma_f64 v[28:29], v[28:29], -0.5, v[96:97]
	v_fma_f64 v[48:49], v[30:31], s[6:7], v[28:29]
	v_fma_f64 v[86:87], v[30:31], s[4:5], v[28:29]
	v_add_f64 v[28:29], v[40:41], v[44:45]
	v_add_f64 v[40:41], v[40:41], -v[44:45]
	v_mul_f64 v[30:31], v[48:49], s[4:5]
	v_mul_f64 v[48:49], v[48:49], 0.5
	v_fma_f64 v[88:89], v[34:35], 0.5, v[30:31]
	v_fma_f64 v[94:95], v[34:35], s[6:7], v[48:49]
	v_mul_f64 v[48:49], v[86:87], -0.5
	v_mul_f64 v[30:31], v[86:87], s[4:5]
	v_add_f64 v[32:33], v[42:43], v[88:89]
	v_add_f64 v[44:45], v[42:43], -v[88:89]
	v_fma_f64 v[86:87], v[38:39], s[6:7], v[48:49]
	v_fma_f64 v[92:93], v[38:39], -0.5, v[30:31]
	v_add_f64 v[30:31], v[50:51], v[90:91]
	v_add_f64 v[42:43], v[50:51], -v[90:91]
	v_add_f64 v[34:35], v[70:71], v[94:95]
	v_add_f64 v[38:39], v[84:85], v[86:87]
	v_add_f64 v[50:51], v[84:85], -v[86:87]
	v_add_f64 v[84:85], v[68:69], v[60:61]
	v_add_f64 v[36:37], v[46:47], v[92:93]
	v_add_f64 v[48:49], v[46:47], -v[92:93]
	v_add_f64 v[46:47], v[70:71], -v[94:95]
	v_add_f64 v[70:71], v[24:25], v[68:69]
	v_fma_f64 v[24:25], v[84:85], -0.5, v[24:25]
	v_add_f64 v[84:85], v[62:63], -v[54:55]
	v_add_f64 v[70:71], v[70:71], v[60:61]
	v_fma_f64 v[86:87], v[84:85], s[4:5], v[24:25]
	v_fma_f64 v[24:25], v[84:85], s[6:7], v[24:25]
	v_add_f64 v[84:85], v[26:27], v[62:63]
	v_add_f64 v[90:91], v[84:85], v[54:55]
	;; [unrolled: 1-line block ×3, first 2 shown]
	v_fma_f64 v[26:27], v[54:55], -0.5, v[26:27]
	v_add_f64 v[54:55], v[68:69], -v[60:61]
	v_add_f64 v[60:61], v[58:59], -v[104:105]
	v_fma_f64 v[92:93], v[54:55], s[6:7], v[26:27]
	v_fma_f64 v[26:27], v[54:55], s[4:5], v[26:27]
	v_add_f64 v[54:55], v[102:103], v[64:65]
	v_add_f64 v[68:69], v[54:55], v[56:57]
	;; [unrolled: 1-line block ×3, first 2 shown]
	v_add_f64 v[56:57], v[64:65], -v[56:57]
	v_fma_f64 v[54:55], v[54:55], -0.5, v[102:103]
	v_fma_f64 v[84:85], v[60:61], s[4:5], v[54:55]
	v_fma_f64 v[88:89], v[60:61], s[6:7], v[54:55]
	v_add_f64 v[54:55], v[66:67], v[58:59]
	v_add_f64 v[94:95], v[54:55], v[104:105]
	;; [unrolled: 1-line block ×3, first 2 shown]
	v_fma_f64 v[54:55], v[54:55], -0.5, v[66:67]
	v_add_f64 v[66:67], v[70:71], -v[68:69]
	v_fma_f64 v[60:61], v[56:57], s[6:7], v[54:55]
	v_fma_f64 v[64:65], v[56:57], s[4:5], v[54:55]
	v_add_f64 v[54:55], v[70:71], v[68:69]
	v_add_f64 v[68:69], v[90:91], -v[94:95]
	v_mul_f64 v[56:57], v[60:61], s[4:5]
	v_mul_f64 v[60:61], v[60:61], 0.5
	v_fma_f64 v[96:97], v[84:85], 0.5, v[56:57]
	v_mul_f64 v[56:57], v[64:65], s[4:5]
	v_mul_f64 v[64:65], v[64:65], -0.5
	v_fma_f64 v[100:101], v[84:85], s[6:7], v[60:61]
	v_add_f64 v[58:59], v[86:87], v[96:97]
	v_fma_f64 v[98:99], v[88:89], -0.5, v[56:57]
	v_fma_f64 v[102:103], v[88:89], s[6:7], v[64:65]
	v_add_f64 v[56:57], v[90:91], v[94:95]
	v_add_f64 v[60:61], v[92:93], v[100:101]
	v_add_f64 v[84:85], v[86:87], -v[96:97]
	v_add_f64 v[86:87], v[92:93], -v[100:101]
	v_add_f64 v[62:63], v[24:25], v[98:99]
	v_add_f64 v[64:65], v[26:27], v[102:103]
	v_add_f64 v[88:89], v[24:25], -v[98:99]
	v_mov_b32_e32 v24, 4
	v_add_f64 v[90:91], v[26:27], -v[102:103]
	v_mad_u32_u24 v25, v82, s8, 0
	v_lshlrev_b32_sdwa v26, v24, v83 dst_sel:DWORD dst_unused:UNUSED_PAD src0_sel:DWORD src1_sel:BYTE_0
	v_add3_u32 v25, v25, v26, v80
	ds_write_b128 v25, v[28:31]
	ds_write_b128 v25, v[32:35] offset:208
	ds_write_b128 v25, v[36:39] offset:416
	;; [unrolled: 1-line block ×5, first 2 shown]
	v_mad_u32_u24 v25, v52, s8, 0
	v_lshlrev_b32_sdwa v26, v24, v53 dst_sel:DWORD dst_unused:UNUSED_PAD src0_sel:DWORD src1_sel:BYTE_0
	v_add3_u32 v25, v25, v26, v80
	ds_write_b128 v25, v[54:57]
	ds_write_b128 v25, v[58:61] offset:208
	ds_write_b128 v25, v[62:65] offset:416
	;; [unrolled: 1-line block ×5, first 2 shown]
	s_and_saveexec_b64 s[8:9], vcc
	s_cbranch_execz .LBB0_25
; %bb.24:
	v_add_u16_e32 v25, 0x9c, v74
	v_mul_lo_u16_sdwa v26, v25, s14 dst_sel:DWORD dst_unused:UNUSED_PAD src0_sel:BYTE_0 src1_sel:DWORD
	v_lshrrev_b16_e32 v26, 10, v26
	v_mul_lo_u16_e32 v26, 13, v26
	v_sub_u16_e32 v55, v25, v26
	v_mul_u32_u24_sdwa v25, v55, v81 dst_sel:DWORD dst_unused:UNUSED_PAD src0_sel:BYTE_0 src1_sel:DWORD
	v_lshlrev_b32_e32 v45, 4, v25
	global_load_dwordx4 v[25:28], v45, s[12:13] offset:16
	global_load_dwordx4 v[29:32], v45, s[12:13] offset:48
	;; [unrolled: 1-line block ×4, first 2 shown]
	global_load_dwordx4 v[41:44], v45, s[12:13]
	v_lshlrev_b32_sdwa v24, v24, v55 dst_sel:DWORD dst_unused:UNUSED_PAD src0_sel:DWORD src1_sel:BYTE_0
	v_add3_u32 v24, 0, v24, v80
	s_waitcnt vmcnt(4)
	v_mul_f64 v[45:46], v[8:9], v[27:28]
	s_waitcnt vmcnt(3)
	v_mul_f64 v[47:48], v[16:17], v[31:32]
	;; [unrolled: 2-line block ×4, first 2 shown]
	v_mul_f64 v[27:28], v[10:11], v[27:28]
	s_waitcnt vmcnt(0)
	v_mul_f64 v[53:54], v[6:7], v[43:44]
	v_mul_f64 v[35:36], v[14:15], v[35:36]
	;; [unrolled: 1-line block ×5, first 2 shown]
	v_fma_f64 v[14:15], v[14:15], v[33:34], -v[49:50]
	v_fma_f64 v[22:23], v[22:23], v[37:38], -v[51:52]
	;; [unrolled: 1-line block ×4, first 2 shown]
	v_fma_f64 v[8:9], v[8:9], v[25:26], v[27:28]
	v_fma_f64 v[12:13], v[12:13], v[33:34], v[35:36]
	;; [unrolled: 1-line block ×3, first 2 shown]
	v_fma_f64 v[6:7], v[6:7], v[41:42], -v[43:44]
	v_fma_f64 v[16:17], v[16:17], v[29:30], v[31:32]
	v_add_f64 v[25:26], v[14:15], v[22:23]
	v_fma_f64 v[4:5], v[4:5], v[41:42], v[53:54]
	v_add_f64 v[27:28], v[10:11], v[18:19]
	v_add_f64 v[31:32], v[14:15], -v[22:23]
	v_add_f64 v[37:38], v[2:3], v[10:11]
	v_add_f64 v[33:34], v[12:13], v[20:21]
	v_add_f64 v[35:36], v[12:13], -v[20:21]
	v_add_f64 v[14:15], v[6:7], v[14:15]
	v_fma_f64 v[6:7], v[25:26], -0.5, v[6:7]
	v_add_f64 v[29:30], v[8:9], -v[16:17]
	v_add_f64 v[25:26], v[8:9], v[16:17]
	v_add_f64 v[8:9], v[0:1], v[8:9]
	;; [unrolled: 1-line block ×3, first 2 shown]
	v_fma_f64 v[2:3], v[27:28], -0.5, v[2:3]
	v_fma_f64 v[4:5], v[33:34], -0.5, v[4:5]
	v_add_f64 v[10:11], v[10:11], -v[18:19]
	v_fma_f64 v[27:28], v[35:36], s[4:5], v[6:7]
	v_fma_f64 v[6:7], v[35:36], s[6:7], v[6:7]
	v_add_f64 v[14:15], v[14:15], v[22:23]
	v_fma_f64 v[0:1], v[25:26], -0.5, v[0:1]
	v_add_f64 v[8:9], v[8:9], v[16:17]
	v_add_f64 v[12:13], v[12:13], v[20:21]
	v_fma_f64 v[16:17], v[31:32], s[6:7], v[4:5]
	v_fma_f64 v[4:5], v[31:32], s[4:5], v[4:5]
	v_mul_f64 v[20:21], v[27:28], -0.5
	v_mul_f64 v[22:23], v[6:7], 0.5
	v_mul_f64 v[6:7], v[6:7], s[4:5]
	v_mul_f64 v[27:28], v[27:28], s[4:5]
	v_add_f64 v[18:19], v[37:38], v[18:19]
	v_fma_f64 v[25:26], v[29:30], s[4:5], v[2:3]
	v_fma_f64 v[29:30], v[29:30], s[6:7], v[2:3]
	v_fma_f64 v[33:34], v[10:11], s[4:5], v[0:1]
	v_fma_f64 v[20:21], v[16:17], s[6:7], v[20:21]
	v_fma_f64 v[22:23], v[4:5], s[6:7], v[22:23]
	v_fma_f64 v[35:36], v[4:5], 0.5, v[6:7]
	v_fma_f64 v[31:32], v[10:11], s[6:7], v[0:1]
	v_fma_f64 v[27:28], v[16:17], -0.5, v[27:28]
	v_add_f64 v[6:7], v[18:19], v[14:15]
	v_add_f64 v[4:5], v[8:9], v[12:13]
	v_add_f64 v[2:3], v[18:19], -v[14:15]
	v_add_f64 v[0:1], v[8:9], -v[12:13]
	;; [unrolled: 1-line block ×4, first 2 shown]
	v_add_f64 v[18:19], v[25:26], v[20:21]
	v_add_f64 v[22:23], v[29:30], v[22:23]
	;; [unrolled: 1-line block ×4, first 2 shown]
	v_add_f64 v[12:13], v[33:34], -v[35:36]
	v_add_f64 v[8:9], v[31:32], -v[27:28]
	ds_write_b128 v24, v[4:7] offset:14976
	ds_write_b128 v24, v[0:3] offset:15600
	;; [unrolled: 1-line block ×6, first 2 shown]
.LBB0_25:
	s_or_b64 exec, exec, s[8:9]
	v_mul_u32_u24_e32 v0, 12, v74
	v_lshlrev_b32_e32 v48, 4, v0
	s_waitcnt lgkmcnt(0)
	s_barrier
	global_load_dwordx4 v[0:3], v48, s[12:13] offset:1040
	global_load_dwordx4 v[4:7], v48, s[12:13] offset:1056
	;; [unrolled: 1-line block ×12, first 2 shown]
	ds_read_b128 v[48:51], v79
	ds_read_b128 v[52:55], v75 offset:1248
	ds_read_b128 v[56:59], v75 offset:2496
	;; [unrolled: 1-line block ×12, first 2 shown]
	s_mov_b32 s28, 0x4267c47c
	s_mov_b32 s29, 0xbfddbe06
	;; [unrolled: 1-line block ×33, first 2 shown]
	s_waitcnt vmcnt(0) lgkmcnt(0)
	s_barrier
	v_mul_f64 v[107:108], v[54:55], v[2:3]
	v_mul_f64 v[2:3], v[52:53], v[2:3]
	v_mul_f64 v[109:110], v[58:59], v[6:7]
	v_mul_f64 v[6:7], v[56:57], v[6:7]
	v_mul_f64 v[113:114], v[66:67], v[14:15]
	v_mul_f64 v[14:15], v[64:65], v[14:15]
	v_mul_f64 v[115:116], v[70:71], v[18:19]
	v_mul_f64 v[18:19], v[68:69], v[18:19]
	v_fma_f64 v[52:53], v[52:53], v[0:1], v[107:108]
	v_fma_f64 v[0:1], v[54:55], v[0:1], -v[2:3]
	v_mul_f64 v[2:3], v[81:82], v[22:23]
	v_mul_f64 v[111:112], v[62:63], v[10:11]
	;; [unrolled: 1-line block ×3, first 2 shown]
	v_fma_f64 v[56:57], v[56:57], v[4:5], v[109:110]
	v_fma_f64 v[58:59], v[58:59], v[4:5], -v[6:7]
	v_fma_f64 v[64:65], v[64:65], v[12:13], v[113:114]
	v_fma_f64 v[12:13], v[66:67], v[12:13], -v[14:15]
	;; [unrolled: 2-line block ×3, first 2 shown]
	v_fma_f64 v[4:5], v[79:80], v[20:21], v[2:3]
	v_add_f64 v[2:3], v[48:49], v[52:53]
	v_add_f64 v[18:19], v[50:51], v[0:1]
	v_fma_f64 v[60:61], v[60:61], v[8:9], v[111:112]
	v_fma_f64 v[62:63], v[62:63], v[8:9], -v[10:11]
	v_mul_f64 v[22:23], v[79:80], v[22:23]
	v_mul_f64 v[54:55], v[85:86], v[26:27]
	;; [unrolled: 1-line block ×4, first 2 shown]
	v_add_f64 v[2:3], v[2:3], v[56:57]
	v_add_f64 v[18:19], v[18:19], v[58:59]
	v_mul_f64 v[46:47], v[103:104], v[46:47]
	v_mul_f64 v[107:108], v[89:90], v[30:31]
	v_fma_f64 v[8:9], v[81:82], v[20:21], -v[22:23]
	v_mul_f64 v[30:31], v[87:88], v[30:31]
	v_mul_f64 v[109:110], v[93:94], v[34:35]
	;; [unrolled: 1-line block ×3, first 2 shown]
	v_add_f64 v[2:3], v[2:3], v[60:61]
	v_add_f64 v[18:19], v[18:19], v[62:63]
	v_fma_f64 v[6:7], v[83:84], v[24:25], v[54:55]
	v_fma_f64 v[10:11], v[85:86], v[24:25], -v[26:27]
	v_fma_f64 v[24:25], v[105:106], v[44:45], -v[46:47]
	v_mul_f64 v[111:112], v[97:98], v[38:39]
	v_mul_f64 v[38:39], v[95:96], v[38:39]
	;; [unrolled: 1-line block ×3, first 2 shown]
	v_add_f64 v[2:3], v[2:3], v[64:65]
	v_add_f64 v[18:19], v[18:19], v[12:13]
	v_mul_f64 v[42:43], v[99:100], v[42:43]
	v_fma_f64 v[20:21], v[87:88], v[28:29], v[107:108]
	v_fma_f64 v[22:23], v[89:90], v[28:29], -v[30:31]
	v_fma_f64 v[28:29], v[93:94], v[32:33], -v[34:35]
	v_fma_f64 v[14:15], v[103:104], v[44:45], v[14:15]
	v_add_f64 v[34:35], v[0:1], -v[24:25]
	v_add_f64 v[2:3], v[2:3], v[66:67]
	v_add_f64 v[18:19], v[18:19], v[16:17]
	v_fma_f64 v[26:27], v[91:92], v[32:33], v[109:110]
	v_fma_f64 v[30:31], v[95:96], v[36:37], v[111:112]
	v_fma_f64 v[32:33], v[97:98], v[36:37], -v[38:39]
	v_add_f64 v[36:37], v[0:1], v[24:25]
	v_fma_f64 v[38:39], v[99:100], v[40:41], v[117:118]
	v_fma_f64 v[40:41], v[101:102], v[40:41], -v[42:43]
	v_add_f64 v[2:3], v[2:3], v[4:5]
	v_add_f64 v[18:19], v[18:19], v[8:9]
	;; [unrolled: 1-line block ×3, first 2 shown]
	v_mul_f64 v[0:1], v[34:35], s[28:29]
	v_add_f64 v[44:45], v[52:53], -v[14:15]
	v_mul_f64 v[52:53], v[34:35], s[12:13]
	v_mul_f64 v[54:55], v[36:37], s[14:15]
	;; [unrolled: 1-line block ×3, first 2 shown]
	v_add_f64 v[2:3], v[2:3], v[6:7]
	v_add_f64 v[18:19], v[18:19], v[10:11]
	v_mul_f64 v[70:71], v[36:37], s[6:7]
	v_fma_f64 v[87:88], v[42:43], s[22:23], v[0:1]
	v_fma_f64 v[0:1], v[42:43], s[22:23], -v[0:1]
	v_mul_f64 v[79:80], v[34:35], s[16:17]
	v_mul_f64 v[81:82], v[36:37], s[20:21]
	;; [unrolled: 1-line block ×3, first 2 shown]
	v_add_f64 v[2:3], v[2:3], v[20:21]
	v_add_f64 v[18:19], v[18:19], v[22:23]
	v_mul_f64 v[85:86], v[36:37], s[34:35]
	v_mul_f64 v[46:47], v[36:37], s[22:23]
	v_add_f64 v[107:108], v[48:49], v[0:1]
	v_mul_f64 v[34:35], v[34:35], s[38:39]
	v_fma_f64 v[91:92], v[42:43], s[14:15], v[52:53]
	v_fma_f64 v[93:94], v[44:45], s[18:19], v[54:55]
	v_add_f64 v[2:3], v[2:3], v[26:27]
	v_add_f64 v[18:19], v[18:19], v[28:29]
	v_fma_f64 v[52:53], v[42:43], s[14:15], -v[52:53]
	v_fma_f64 v[54:55], v[44:45], s[12:13], v[54:55]
	v_fma_f64 v[95:96], v[42:43], s[6:7], v[68:69]
	;; [unrolled: 1-line block ×5, first 2 shown]
	v_add_f64 v[0:1], v[2:3], v[30:31]
	v_add_f64 v[2:3], v[18:19], v[32:33]
	v_fma_f64 v[103:104], v[42:43], s[34:35], v[83:84]
	v_fma_f64 v[105:106], v[44:45], s[36:37], v[85:86]
	v_mul_f64 v[36:37], v[36:37], s[40:41]
	v_fma_f64 v[89:90], v[44:45], s[26:27], v[46:47]
	v_fma_f64 v[46:47], v[44:45], s[28:29], v[46:47]
	v_fma_f64 v[68:69], v[42:43], s[6:7], -v[68:69]
	v_add_f64 v[0:1], v[0:1], v[38:39]
	v_add_f64 v[2:3], v[2:3], v[40:41]
	v_fma_f64 v[70:71], v[44:45], s[4:5], v[70:71]
	v_fma_f64 v[79:80], v[42:43], s[20:21], -v[79:80]
	v_fma_f64 v[81:82], v[44:45], s[16:17], v[81:82]
	v_fma_f64 v[83:84], v[42:43], s[34:35], -v[83:84]
	v_fma_f64 v[85:86], v[44:45], s[30:31], v[85:86]
	v_add_f64 v[18:19], v[48:49], v[52:53]
	v_add_f64 v[0:1], v[0:1], v[14:15]
	;; [unrolled: 1-line block ×4, first 2 shown]
	v_add_f64 v[24:25], v[58:59], -v[40:41]
	v_add_f64 v[52:53], v[50:51], v[54:55]
	v_add_f64 v[54:55], v[48:49], v[95:96]
	;; [unrolled: 1-line block ×7, first 2 shown]
	v_fma_f64 v[40:41], v[42:43], s[40:41], v[34:35]
	v_add_f64 v[58:59], v[56:57], v[38:39]
	v_add_f64 v[38:39], v[56:57], -v[38:39]
	v_mul_f64 v[56:57], v[24:25], s[12:13]
	v_mul_f64 v[105:106], v[14:15], s[14:15]
	v_fma_f64 v[109:110], v[44:45], s[42:43], v[36:37]
	v_fma_f64 v[34:35], v[42:43], s[40:41], -v[34:35]
	v_fma_f64 v[36:37], v[44:45], s[38:39], v[36:37]
	v_add_f64 v[87:88], v[48:49], v[87:88]
	v_add_f64 v[89:90], v[50:51], v[89:90]
	;; [unrolled: 1-line block ×11, first 2 shown]
	v_fma_f64 v[83:84], v[58:59], s[14:15], v[56:57]
	v_fma_f64 v[85:86], v[38:39], s[18:19], v[105:106]
	v_add_f64 v[40:41], v[48:49], v[40:41]
	v_add_f64 v[109:110], v[50:51], v[109:110]
	;; [unrolled: 1-line block ×4, first 2 shown]
	v_mul_f64 v[48:49], v[24:25], s[16:17]
	v_mul_f64 v[50:51], v[14:15], s[20:21]
	v_add_f64 v[83:84], v[83:84], v[87:88]
	v_add_f64 v[85:86], v[85:86], v[89:90]
	v_fma_f64 v[56:57], v[58:59], s[14:15], -v[56:57]
	v_fma_f64 v[87:88], v[38:39], s[12:13], v[105:106]
	v_mul_f64 v[89:90], v[24:25], s[38:39]
	v_mul_f64 v[105:106], v[14:15], s[40:41]
	v_fma_f64 v[111:112], v[58:59], s[20:21], v[48:49]
	v_fma_f64 v[113:114], v[38:39], s[24:25], v[50:51]
	v_fma_f64 v[48:49], v[58:59], s[20:21], -v[48:49]
	v_fma_f64 v[50:51], v[38:39], s[16:17], v[50:51]
	v_add_f64 v[56:57], v[56:57], v[107:108]
	v_add_f64 v[46:47], v[87:88], v[46:47]
	v_fma_f64 v[87:88], v[58:59], s[40:41], v[89:90]
	v_fma_f64 v[107:108], v[38:39], s[42:43], v[105:106]
	v_add_f64 v[91:92], v[111:112], v[91:92]
	v_add_f64 v[93:94], v[113:114], v[93:94]
	;; [unrolled: 1-line block ×4, first 2 shown]
	v_mul_f64 v[50:51], v[24:25], s[36:37]
	v_mul_f64 v[52:53], v[14:15], s[34:35]
	v_add_f64 v[54:55], v[87:88], v[54:55]
	v_add_f64 v[87:88], v[107:108], v[95:96]
	v_mul_f64 v[95:96], v[24:25], s[8:9]
	v_mul_f64 v[107:108], v[14:15], s[6:7]
	v_fma_f64 v[89:90], v[58:59], s[40:41], -v[89:90]
	v_fma_f64 v[105:106], v[38:39], s[38:39], v[105:106]
	v_fma_f64 v[111:112], v[58:59], s[34:35], v[50:51]
	;; [unrolled: 1-line block ×3, first 2 shown]
	v_fma_f64 v[50:51], v[58:59], s[34:35], -v[50:51]
	v_fma_f64 v[52:53], v[38:39], s[36:37], v[52:53]
	v_fma_f64 v[115:116], v[58:59], s[6:7], v[95:96]
	;; [unrolled: 1-line block ×3, first 2 shown]
	v_add_f64 v[68:69], v[89:90], v[68:69]
	v_mul_f64 v[24:25], v[24:25], s[26:27]
	v_add_f64 v[89:90], v[111:112], v[97:98]
	v_add_f64 v[97:98], v[113:114], v[99:100]
	v_add_f64 v[99:100], v[62:63], -v[32:33]
	v_add_f64 v[32:33], v[62:63], v[32:33]
	v_add_f64 v[50:51], v[50:51], v[79:80]
	;; [unrolled: 1-line block ×5, first 2 shown]
	v_mul_f64 v[14:15], v[14:15], s[22:23]
	v_fma_f64 v[62:63], v[58:59], s[6:7], -v[95:96]
	v_fma_f64 v[95:96], v[38:39], s[8:9], v[107:108]
	v_add_f64 v[101:102], v[60:61], v[30:31]
	v_add_f64 v[30:31], v[60:61], -v[30:31]
	v_mul_f64 v[60:61], v[99:100], s[4:5]
	v_mul_f64 v[103:104], v[32:33], s[6:7]
	v_add_f64 v[70:71], v[105:106], v[70:71]
	v_fma_f64 v[105:106], v[58:59], s[22:23], v[24:25]
	v_fma_f64 v[107:108], v[38:39], s[28:29], v[14:15]
	v_fma_f64 v[24:25], v[58:59], s[22:23], -v[24:25]
	v_fma_f64 v[14:15], v[38:39], s[26:27], v[14:15]
	v_add_f64 v[38:39], v[62:63], v[42:43]
	v_add_f64 v[42:43], v[95:96], v[44:45]
	v_fma_f64 v[44:45], v[101:102], s[6:7], v[60:61]
	v_fma_f64 v[58:59], v[30:31], s[8:9], v[103:104]
	v_fma_f64 v[60:61], v[101:102], s[6:7], -v[60:61]
	v_mul_f64 v[95:96], v[32:33], s[20:21]
	v_add_f64 v[24:25], v[24:25], v[34:35]
	v_add_f64 v[14:15], v[14:15], v[36:37]
	v_mul_f64 v[34:35], v[99:100], s[38:39]
	v_mul_f64 v[36:37], v[32:33], s[40:41]
	v_add_f64 v[44:45], v[44:45], v[83:84]
	v_add_f64 v[58:59], v[58:59], v[85:86]
	v_fma_f64 v[83:84], v[30:31], s[4:5], v[103:104]
	v_mul_f64 v[85:86], v[99:100], s[24:25]
	v_add_f64 v[40:41], v[105:106], v[40:41]
	v_add_f64 v[56:57], v[60:61], v[56:57]
	v_fma_f64 v[103:104], v[101:102], s[40:41], v[34:35]
	v_fma_f64 v[105:106], v[30:31], s[42:43], v[36:37]
	v_fma_f64 v[34:35], v[101:102], s[40:41], -v[34:35]
	v_fma_f64 v[36:37], v[30:31], s[38:39], v[36:37]
	v_add_f64 v[46:47], v[83:84], v[46:47]
	v_fma_f64 v[60:61], v[101:102], s[20:21], v[85:86]
	v_fma_f64 v[83:84], v[30:31], s[16:17], v[95:96]
	v_add_f64 v[62:63], v[107:108], v[109:110]
	v_add_f64 v[91:92], v[103:104], v[91:92]
	;; [unrolled: 1-line block ×5, first 2 shown]
	v_mul_f64 v[36:37], v[99:100], s[26:27]
	v_add_f64 v[54:55], v[60:61], v[54:55]
	v_add_f64 v[60:61], v[83:84], v[87:88]
	v_mul_f64 v[83:84], v[99:100], s[12:13]
	v_mul_f64 v[48:49], v[32:33], s[22:23]
	;; [unrolled: 1-line block ×3, first 2 shown]
	v_fma_f64 v[95:96], v[30:31], s[24:25], v[95:96]
	v_fma_f64 v[85:86], v[101:102], s[20:21], -v[85:86]
	v_fma_f64 v[103:104], v[101:102], s[22:23], v[36:37]
	v_fma_f64 v[36:37], v[101:102], s[22:23], -v[36:37]
	v_mul_f64 v[32:33], v[32:33], s[34:35]
	v_fma_f64 v[107:108], v[101:102], s[14:15], v[83:84]
	v_fma_f64 v[105:106], v[30:31], s[28:29], v[48:49]
	;; [unrolled: 1-line block ×4, first 2 shown]
	v_add_f64 v[70:71], v[95:96], v[70:71]
	v_add_f64 v[68:69], v[85:86], v[68:69]
	;; [unrolled: 1-line block ×5, first 2 shown]
	v_add_f64 v[79:80], v[12:13], -v[28:29]
	v_add_f64 v[12:13], v[12:13], v[28:29]
	v_add_f64 v[48:49], v[48:49], v[52:53]
	;; [unrolled: 1-line block ×3, first 2 shown]
	v_mul_f64 v[28:29], v[99:100], s[30:31]
	v_fma_f64 v[81:82], v[101:102], s[14:15], -v[83:84]
	v_fma_f64 v[83:84], v[30:31], s[12:13], v[87:88]
	v_add_f64 v[87:88], v[64:65], v[26:27]
	v_add_f64 v[26:27], v[64:65], -v[26:27]
	v_mul_f64 v[64:65], v[79:80], s[16:17]
	v_mul_f64 v[95:96], v[12:13], s[20:21]
	v_add_f64 v[89:90], v[105:106], v[97:98]
	v_fma_f64 v[97:98], v[101:102], s[34:35], v[28:29]
	v_fma_f64 v[99:100], v[30:31], s[36:37], v[32:33]
	v_fma_f64 v[28:29], v[101:102], s[34:35], -v[28:29]
	v_fma_f64 v[30:31], v[30:31], s[30:31], v[32:33]
	v_add_f64 v[32:33], v[81:82], v[38:39]
	v_add_f64 v[38:39], v[83:84], v[42:43]
	v_fma_f64 v[42:43], v[87:88], s[20:21], v[64:65]
	v_fma_f64 v[81:82], v[26:27], s[24:25], v[95:96]
	v_mul_f64 v[83:84], v[12:13], s[22:23]
	v_add_f64 v[40:41], v[97:98], v[40:41]
	v_add_f64 v[24:25], v[28:29], v[24:25]
	;; [unrolled: 1-line block ×3, first 2 shown]
	v_mul_f64 v[28:29], v[79:80], s[36:37]
	v_mul_f64 v[30:31], v[12:13], s[34:35]
	v_add_f64 v[42:43], v[42:43], v[44:45]
	v_add_f64 v[44:45], v[81:82], v[58:59]
	v_fma_f64 v[58:59], v[87:88], s[20:21], -v[64:65]
	v_fma_f64 v[64:65], v[26:27], s[16:17], v[95:96]
	v_mul_f64 v[81:82], v[79:80], s[26:27]
	v_add_f64 v[62:63], v[99:100], v[62:63]
	v_fma_f64 v[95:96], v[87:88], s[34:35], v[28:29]
	v_fma_f64 v[97:98], v[26:27], s[30:31], v[30:31]
	v_fma_f64 v[28:29], v[87:88], s[34:35], -v[28:29]
	v_fma_f64 v[30:31], v[26:27], s[36:37], v[30:31]
	v_add_f64 v[56:57], v[58:59], v[56:57]
	v_add_f64 v[46:47], v[64:65], v[46:47]
	v_fma_f64 v[58:59], v[87:88], s[22:23], v[81:82]
	v_fma_f64 v[64:65], v[26:27], s[28:29], v[83:84]
	v_add_f64 v[91:92], v[95:96], v[91:92]
	v_add_f64 v[93:94], v[97:98], v[93:94]
	;; [unrolled: 1-line block ×4, first 2 shown]
	v_mul_f64 v[30:31], v[79:80], s[4:5]
	v_mul_f64 v[34:35], v[12:13], s[6:7]
	v_add_f64 v[54:55], v[58:59], v[54:55]
	v_add_f64 v[58:59], v[64:65], v[60:61]
	v_fma_f64 v[60:61], v[87:88], s[22:23], -v[81:82]
	v_fma_f64 v[64:65], v[26:27], s[26:27], v[83:84]
	v_mul_f64 v[81:82], v[79:80], s[42:43]
	v_mul_f64 v[83:84], v[12:13], s[40:41]
	v_fma_f64 v[95:96], v[87:88], s[6:7], v[30:31]
	v_fma_f64 v[97:98], v[26:27], s[8:9], v[34:35]
	v_fma_f64 v[30:31], v[87:88], s[6:7], -v[30:31]
	v_fma_f64 v[34:35], v[26:27], s[4:5], v[34:35]
	v_add_f64 v[60:61], v[60:61], v[68:69]
	v_add_f64 v[64:65], v[64:65], v[70:71]
	v_fma_f64 v[68:69], v[87:88], s[40:41], v[81:82]
	v_fma_f64 v[70:71], v[26:27], s[38:39], v[83:84]
	v_mul_f64 v[12:13], v[12:13], s[14:15]
	v_add_f64 v[89:90], v[97:98], v[89:90]
	v_add_f64 v[30:31], v[30:31], v[36:37]
	;; [unrolled: 1-line block ×3, first 2 shown]
	v_mul_f64 v[36:37], v[79:80], s[18:19]
	v_add_f64 v[85:86], v[95:96], v[85:86]
	v_add_f64 v[48:49], v[68:69], v[50:51]
	;; [unrolled: 1-line block ×3, first 2 shown]
	v_add_f64 v[52:53], v[16:17], -v[22:23]
	v_add_f64 v[16:17], v[16:17], v[22:23]
	v_fma_f64 v[22:23], v[87:88], s[40:41], -v[81:82]
	v_fma_f64 v[68:69], v[26:27], s[42:43], v[83:84]
	v_fma_f64 v[70:71], v[87:88], s[14:15], v[36:37]
	;; [unrolled: 1-line block ×3, first 2 shown]
	v_add_f64 v[81:82], v[66:67], v[20:21]
	v_add_f64 v[20:21], v[66:67], -v[20:21]
	v_mul_f64 v[66:67], v[52:53], s[30:31]
	v_mul_f64 v[83:84], v[16:17], s[34:35]
	v_fma_f64 v[36:37], v[87:88], s[14:15], -v[36:37]
	v_fma_f64 v[12:13], v[26:27], s[18:19], v[12:13]
	v_add_f64 v[22:23], v[22:23], v[32:33]
	v_add_f64 v[26:27], v[68:69], v[38:39]
	v_add_f64 v[32:33], v[70:71], v[40:41]
	v_add_f64 v[38:39], v[79:80], v[62:63]
	v_fma_f64 v[40:41], v[81:82], s[34:35], v[66:67]
	v_fma_f64 v[62:63], v[20:21], s[36:37], v[83:84]
	v_add_f64 v[24:25], v[36:37], v[24:25]
	v_add_f64 v[12:13], v[12:13], v[14:15]
	v_mul_f64 v[14:15], v[52:53], s[8:9]
	v_mul_f64 v[36:37], v[16:17], s[6:7]
	v_fma_f64 v[66:67], v[81:82], s[34:35], -v[66:67]
	v_fma_f64 v[68:69], v[20:21], s[30:31], v[83:84]
	v_add_f64 v[40:41], v[40:41], v[42:43]
	v_add_f64 v[42:43], v[62:63], v[44:45]
	v_mul_f64 v[44:45], v[52:53], s[12:13]
	v_mul_f64 v[62:63], v[16:17], s[14:15]
	v_fma_f64 v[70:71], v[81:82], s[6:7], v[14:15]
	v_fma_f64 v[79:80], v[20:21], s[4:5], v[36:37]
	v_add_f64 v[56:57], v[66:67], v[56:57]
	v_add_f64 v[46:47], v[68:69], v[46:47]
	v_fma_f64 v[14:15], v[81:82], s[6:7], -v[14:15]
	v_fma_f64 v[36:37], v[20:21], s[8:9], v[36:37]
	v_fma_f64 v[66:67], v[81:82], s[14:15], v[44:45]
	;; [unrolled: 1-line block ×3, first 2 shown]
	v_mul_f64 v[83:84], v[52:53], s[42:43]
	v_mul_f64 v[87:88], v[16:17], s[40:41]
	v_add_f64 v[70:71], v[70:71], v[91:92]
	v_add_f64 v[79:80], v[79:80], v[93:94]
	;; [unrolled: 1-line block ×6, first 2 shown]
	v_fma_f64 v[14:15], v[81:82], s[14:15], -v[44:45]
	v_fma_f64 v[44:45], v[20:21], s[12:13], v[62:63]
	v_mul_f64 v[68:69], v[16:17], s[22:23]
	v_fma_f64 v[58:59], v[81:82], s[40:41], v[83:84]
	v_fma_f64 v[62:63], v[20:21], s[38:39], v[87:88]
	v_mul_f64 v[66:67], v[52:53], s[26:27]
	v_fma_f64 v[83:84], v[81:82], s[40:41], -v[83:84]
	v_fma_f64 v[87:88], v[20:21], s[42:43], v[87:88]
	v_mul_f64 v[52:53], v[52:53], s[16:17]
	v_add_f64 v[44:45], v[44:45], v[64:65]
	v_fma_f64 v[64:65], v[20:21], s[28:29], v[68:69]
	v_mul_f64 v[16:17], v[16:17], s[20:21]
	v_add_f64 v[60:61], v[14:15], v[60:61]
	v_add_f64 v[62:63], v[62:63], v[89:90]
	v_fma_f64 v[14:15], v[81:82], s[22:23], v[66:67]
	v_add_f64 v[83:84], v[83:84], v[30:31]
	v_add_f64 v[34:35], v[87:88], v[34:35]
	v_fma_f64 v[30:31], v[81:82], s[22:23], -v[66:67]
	v_add_f64 v[50:51], v[64:65], v[50:51]
	v_add_f64 v[64:65], v[8:9], -v[10:11]
	v_fma_f64 v[66:67], v[20:21], s[26:27], v[68:69]
	v_add_f64 v[68:69], v[8:9], v[10:11]
	v_fma_f64 v[8:9], v[81:82], s[20:21], v[52:53]
	v_fma_f64 v[10:11], v[20:21], s[24:25], v[16:17]
	v_add_f64 v[87:88], v[4:5], v[6:7]
	v_add_f64 v[89:90], v[4:5], -v[6:7]
	v_fma_f64 v[16:17], v[20:21], s[16:17], v[16:17]
	v_mul_f64 v[4:5], v[64:65], s[38:39]
	v_mul_f64 v[20:21], v[64:65], s[26:27]
	v_add_f64 v[58:59], v[58:59], v[85:86]
	v_add_f64 v[48:49], v[14:15], v[48:49]
	;; [unrolled: 1-line block ×4, first 2 shown]
	v_mul_f64 v[6:7], v[68:69], s[40:41]
	v_fma_f64 v[14:15], v[81:82], s[20:21], -v[52:53]
	v_add_f64 v[52:53], v[8:9], v[32:33]
	v_mul_f64 v[22:23], v[68:69], s[22:23]
	v_fma_f64 v[8:9], v[87:88], s[40:41], v[4:5]
	v_add_f64 v[93:94], v[16:17], v[12:13]
	v_fma_f64 v[12:13], v[87:88], s[40:41], -v[4:5]
	v_fma_f64 v[16:17], v[87:88], s[22:23], v[20:21]
	v_mul_f64 v[26:27], v[64:65], s[30:31]
	v_add_f64 v[81:82], v[10:11], v[38:39]
	v_fma_f64 v[10:11], v[89:90], s[42:43], v[6:7]
	v_add_f64 v[91:92], v[14:15], v[24:25]
	v_fma_f64 v[14:15], v[89:90], s[38:39], v[6:7]
	v_fma_f64 v[24:25], v[89:90], s[28:29], v[22:23]
	v_add_f64 v[4:5], v[8:9], v[40:41]
	v_mul_f64 v[30:31], v[68:69], s[34:35]
	v_add_f64 v[8:9], v[12:13], v[56:57]
	v_add_f64 v[12:13], v[16:17], v[70:71]
	v_fma_f64 v[16:17], v[87:88], s[22:23], -v[20:21]
	v_fma_f64 v[20:21], v[89:90], s[26:27], v[22:23]
	v_fma_f64 v[22:23], v[87:88], s[34:35], v[26:27]
	v_mul_f64 v[38:39], v[68:69], s[14:15]
	v_add_f64 v[6:7], v[10:11], v[42:43]
	v_add_f64 v[10:11], v[14:15], v[46:47]
	;; [unrolled: 1-line block ×3, first 2 shown]
	v_fma_f64 v[24:25], v[89:90], s[36:37], v[30:31]
	v_fma_f64 v[26:27], v[87:88], s[34:35], -v[26:27]
	v_fma_f64 v[30:31], v[89:90], s[30:31], v[30:31]
	v_add_f64 v[16:17], v[16:17], v[18:19]
	v_add_f64 v[18:19], v[20:21], v[28:29]
	;; [unrolled: 1-line block ×3, first 2 shown]
	v_fma_f64 v[36:37], v[89:90], s[12:13], v[38:39]
	v_mul_f64 v[32:33], v[64:65], s[18:19]
	v_fma_f64 v[38:39], v[89:90], s[18:19], v[38:39]
	v_mul_f64 v[40:41], v[64:65], s[16:17]
	v_mul_f64 v[42:43], v[68:69], s[20:21]
	v_add_f64 v[22:23], v[24:25], v[54:55]
	v_add_f64 v[24:25], v[26:27], v[60:61]
	;; [unrolled: 1-line block ×4, first 2 shown]
	v_mul_f64 v[36:37], v[64:65], s[8:9]
	v_mul_f64 v[44:45], v[68:69], s[6:7]
	v_fma_f64 v[28:29], v[87:88], s[14:15], v[32:33]
	v_add_f64 v[34:35], v[38:39], v[34:35]
	v_fma_f64 v[38:39], v[87:88], s[20:21], v[40:41]
	v_fma_f64 v[46:47], v[89:90], s[24:25], v[42:43]
	v_fma_f64 v[32:33], v[87:88], s[14:15], -v[32:33]
	v_fma_f64 v[40:41], v[87:88], s[20:21], -v[40:41]
	v_fma_f64 v[54:55], v[87:88], s[6:7], v[36:37]
	v_fma_f64 v[56:57], v[89:90], s[4:5], v[44:45]
	v_add_f64 v[28:29], v[28:29], v[58:59]
	v_fma_f64 v[58:59], v[87:88], s[6:7], -v[36:37]
	v_fma_f64 v[60:61], v[89:90], s[8:9], v[44:45]
	v_fma_f64 v[42:43], v[89:90], s[16:17], v[42:43]
	v_add_f64 v[36:37], v[38:39], v[48:49]
	v_add_f64 v[38:39], v[46:47], v[50:51]
	;; [unrolled: 1-line block ×9, first 2 shown]
	ds_write_b128 v75, v[0:3]
	ds_write_b128 v75, v[4:7] offset:1248
	ds_write_b128 v75, v[12:15] offset:2496
	;; [unrolled: 1-line block ×12, first 2 shown]
	s_waitcnt lgkmcnt(0)
	s_barrier
	s_and_saveexec_b64 s[4:5], s[0:1]
	s_cbranch_execz .LBB0_27
; %bb.26:
	v_mul_lo_u32 v0, s3, v76
	v_mul_lo_u32 v1, s2, v77
	v_mad_u64_u32 v[4:5], s[0:1], s2, v76, 0
	v_mov_b32_e32 v6, s11
	v_lshl_add_u32 v10, v74, 4, v78
	v_add3_u32 v5, v5, v1, v0
	v_lshlrev_b64 v[4:5], 4, v[4:5]
	v_mov_b32_e32 v75, 0
	v_add_co_u32_e32 v7, vcc, s10, v4
	v_addc_co_u32_e32 v6, vcc, v6, v5, vcc
	v_lshlrev_b64 v[4:5], 4, v[72:73]
	ds_read_b128 v[0:3], v10
	v_add_co_u32_e32 v11, vcc, v7, v4
	v_addc_co_u32_e32 v12, vcc, v6, v5, vcc
	v_lshlrev_b64 v[4:5], 4, v[74:75]
	v_add_co_u32_e32 v8, vcc, v11, v4
	v_addc_co_u32_e32 v9, vcc, v12, v5, vcc
	ds_read_b128 v[4:7], v10 offset:1248
	s_waitcnt lgkmcnt(1)
	global_store_dwordx4 v[8:9], v[0:3], off
	s_nop 0
	v_add_u32_e32 v0, 0x4e, v74
	v_mov_b32_e32 v1, v75
	v_lshlrev_b64 v[0:1], 4, v[0:1]
	v_add_co_u32_e32 v0, vcc, v11, v0
	v_addc_co_u32_e32 v1, vcc, v12, v1, vcc
	s_waitcnt lgkmcnt(0)
	global_store_dwordx4 v[0:1], v[4:7], off
	ds_read_b128 v[0:3], v10 offset:2496
	v_add_u32_e32 v4, 0x9c, v74
	v_mov_b32_e32 v5, v75
	v_lshlrev_b64 v[4:5], 4, v[4:5]
	v_add_co_u32_e32 v8, vcc, v11, v4
	v_addc_co_u32_e32 v9, vcc, v12, v5, vcc
	ds_read_b128 v[4:7], v10 offset:3744
	s_waitcnt lgkmcnt(1)
	global_store_dwordx4 v[8:9], v[0:3], off
	s_nop 0
	v_add_u32_e32 v0, 0xea, v74
	v_mov_b32_e32 v1, v75
	v_lshlrev_b64 v[0:1], 4, v[0:1]
	v_add_co_u32_e32 v0, vcc, v11, v0
	v_addc_co_u32_e32 v1, vcc, v12, v1, vcc
	s_waitcnt lgkmcnt(0)
	global_store_dwordx4 v[0:1], v[4:7], off
	ds_read_b128 v[0:3], v10 offset:4992
	v_add_u32_e32 v4, 0x138, v74
	v_mov_b32_e32 v5, v75
	;; [unrolled: 17-line block ×5, first 2 shown]
	v_lshlrev_b64 v[4:5], 4, v[4:5]
	v_add_co_u32_e32 v8, vcc, v11, v4
	v_addc_co_u32_e32 v9, vcc, v12, v5, vcc
	ds_read_b128 v[4:7], v10 offset:13728
	s_waitcnt lgkmcnt(1)
	global_store_dwordx4 v[8:9], v[0:3], off
	s_nop 0
	v_add_u32_e32 v0, 0x35a, v74
	v_mov_b32_e32 v1, v75
	v_lshlrev_b64 v[0:1], 4, v[0:1]
	v_add_u32_e32 v74, 0x3a8, v74
	v_add_co_u32_e32 v0, vcc, v11, v0
	v_addc_co_u32_e32 v1, vcc, v12, v1, vcc
	s_waitcnt lgkmcnt(0)
	global_store_dwordx4 v[0:1], v[4:7], off
	ds_read_b128 v[0:3], v10 offset:14976
	v_lshlrev_b64 v[4:5], 4, v[74:75]
	v_add_co_u32_e32 v4, vcc, v11, v4
	v_addc_co_u32_e32 v5, vcc, v12, v5, vcc
	s_waitcnt lgkmcnt(0)
	global_store_dwordx4 v[4:5], v[0:3], off
.LBB0_27:
	s_endpgm
	.section	.rodata,"a",@progbits
	.p2align	6, 0x0
	.amdhsa_kernel fft_rtc_back_len1014_factors_13_6_13_wgs_156_tpt_78_dp_op_CI_CI_unitstride_sbrr_C2R_dirReg
		.amdhsa_group_segment_fixed_size 0
		.amdhsa_private_segment_fixed_size 0
		.amdhsa_kernarg_size 104
		.amdhsa_user_sgpr_count 6
		.amdhsa_user_sgpr_private_segment_buffer 1
		.amdhsa_user_sgpr_dispatch_ptr 0
		.amdhsa_user_sgpr_queue_ptr 0
		.amdhsa_user_sgpr_kernarg_segment_ptr 1
		.amdhsa_user_sgpr_dispatch_id 0
		.amdhsa_user_sgpr_flat_scratch_init 0
		.amdhsa_user_sgpr_private_segment_size 0
		.amdhsa_uses_dynamic_stack 0
		.amdhsa_system_sgpr_private_segment_wavefront_offset 0
		.amdhsa_system_sgpr_workgroup_id_x 1
		.amdhsa_system_sgpr_workgroup_id_y 0
		.amdhsa_system_sgpr_workgroup_id_z 0
		.amdhsa_system_sgpr_workgroup_info 0
		.amdhsa_system_vgpr_workitem_id 0
		.amdhsa_next_free_vgpr 125
		.amdhsa_next_free_sgpr 46
		.amdhsa_reserve_vcc 1
		.amdhsa_reserve_flat_scratch 0
		.amdhsa_float_round_mode_32 0
		.amdhsa_float_round_mode_16_64 0
		.amdhsa_float_denorm_mode_32 3
		.amdhsa_float_denorm_mode_16_64 3
		.amdhsa_dx10_clamp 1
		.amdhsa_ieee_mode 1
		.amdhsa_fp16_overflow 0
		.amdhsa_exception_fp_ieee_invalid_op 0
		.amdhsa_exception_fp_denorm_src 0
		.amdhsa_exception_fp_ieee_div_zero 0
		.amdhsa_exception_fp_ieee_overflow 0
		.amdhsa_exception_fp_ieee_underflow 0
		.amdhsa_exception_fp_ieee_inexact 0
		.amdhsa_exception_int_div_zero 0
	.end_amdhsa_kernel
	.text
.Lfunc_end0:
	.size	fft_rtc_back_len1014_factors_13_6_13_wgs_156_tpt_78_dp_op_CI_CI_unitstride_sbrr_C2R_dirReg, .Lfunc_end0-fft_rtc_back_len1014_factors_13_6_13_wgs_156_tpt_78_dp_op_CI_CI_unitstride_sbrr_C2R_dirReg
                                        ; -- End function
	.section	.AMDGPU.csdata,"",@progbits
; Kernel info:
; codeLenInByte = 14024
; NumSgprs: 50
; NumVgprs: 125
; ScratchSize: 0
; MemoryBound: 0
; FloatMode: 240
; IeeeMode: 1
; LDSByteSize: 0 bytes/workgroup (compile time only)
; SGPRBlocks: 6
; VGPRBlocks: 31
; NumSGPRsForWavesPerEU: 50
; NumVGPRsForWavesPerEU: 125
; Occupancy: 2
; WaveLimiterHint : 1
; COMPUTE_PGM_RSRC2:SCRATCH_EN: 0
; COMPUTE_PGM_RSRC2:USER_SGPR: 6
; COMPUTE_PGM_RSRC2:TRAP_HANDLER: 0
; COMPUTE_PGM_RSRC2:TGID_X_EN: 1
; COMPUTE_PGM_RSRC2:TGID_Y_EN: 0
; COMPUTE_PGM_RSRC2:TGID_Z_EN: 0
; COMPUTE_PGM_RSRC2:TIDIG_COMP_CNT: 0
	.type	__hip_cuid_c03ab5248d8a81ab,@object ; @__hip_cuid_c03ab5248d8a81ab
	.section	.bss,"aw",@nobits
	.globl	__hip_cuid_c03ab5248d8a81ab
__hip_cuid_c03ab5248d8a81ab:
	.byte	0                               ; 0x0
	.size	__hip_cuid_c03ab5248d8a81ab, 1

	.ident	"AMD clang version 19.0.0git (https://github.com/RadeonOpenCompute/llvm-project roc-6.4.0 25133 c7fe45cf4b819c5991fe208aaa96edf142730f1d)"
	.section	".note.GNU-stack","",@progbits
	.addrsig
	.addrsig_sym __hip_cuid_c03ab5248d8a81ab
	.amdgpu_metadata
---
amdhsa.kernels:
  - .args:
      - .actual_access:  read_only
        .address_space:  global
        .offset:         0
        .size:           8
        .value_kind:     global_buffer
      - .offset:         8
        .size:           8
        .value_kind:     by_value
      - .actual_access:  read_only
        .address_space:  global
        .offset:         16
        .size:           8
        .value_kind:     global_buffer
      - .actual_access:  read_only
        .address_space:  global
        .offset:         24
        .size:           8
        .value_kind:     global_buffer
      - .actual_access:  read_only
        .address_space:  global
        .offset:         32
        .size:           8
        .value_kind:     global_buffer
      - .offset:         40
        .size:           8
        .value_kind:     by_value
      - .actual_access:  read_only
        .address_space:  global
        .offset:         48
        .size:           8
        .value_kind:     global_buffer
      - .actual_access:  read_only
        .address_space:  global
        .offset:         56
        .size:           8
        .value_kind:     global_buffer
      - .offset:         64
        .size:           4
        .value_kind:     by_value
      - .actual_access:  read_only
        .address_space:  global
        .offset:         72
        .size:           8
        .value_kind:     global_buffer
      - .actual_access:  read_only
        .address_space:  global
        .offset:         80
        .size:           8
        .value_kind:     global_buffer
      - .actual_access:  read_only
        .address_space:  global
        .offset:         88
        .size:           8
        .value_kind:     global_buffer
      - .actual_access:  write_only
        .address_space:  global
        .offset:         96
        .size:           8
        .value_kind:     global_buffer
    .group_segment_fixed_size: 0
    .kernarg_segment_align: 8
    .kernarg_segment_size: 104
    .language:       OpenCL C
    .language_version:
      - 2
      - 0
    .max_flat_workgroup_size: 156
    .name:           fft_rtc_back_len1014_factors_13_6_13_wgs_156_tpt_78_dp_op_CI_CI_unitstride_sbrr_C2R_dirReg
    .private_segment_fixed_size: 0
    .sgpr_count:     50
    .sgpr_spill_count: 0
    .symbol:         fft_rtc_back_len1014_factors_13_6_13_wgs_156_tpt_78_dp_op_CI_CI_unitstride_sbrr_C2R_dirReg.kd
    .uniform_work_group_size: 1
    .uses_dynamic_stack: false
    .vgpr_count:     125
    .vgpr_spill_count: 0
    .wavefront_size: 64
amdhsa.target:   amdgcn-amd-amdhsa--gfx906
amdhsa.version:
  - 1
  - 2
...

	.end_amdgpu_metadata
